;; amdgpu-corpus repo=ROCm/rocFFT kind=compiled arch=gfx1100 opt=O3
	.text
	.amdgcn_target "amdgcn-amd-amdhsa--gfx1100"
	.amdhsa_code_object_version 6
	.protected	bluestein_single_back_len2916_dim1_sp_op_CI_CI ; -- Begin function bluestein_single_back_len2916_dim1_sp_op_CI_CI
	.globl	bluestein_single_back_len2916_dim1_sp_op_CI_CI
	.p2align	8
	.type	bluestein_single_back_len2916_dim1_sp_op_CI_CI,@function
bluestein_single_back_len2916_dim1_sp_op_CI_CI: ; @bluestein_single_back_len2916_dim1_sp_op_CI_CI
; %bb.0:
	s_load_b128 s[16:19], s[0:1], 0x28
	v_mul_u32_u24_e32 v1, 0x10e, v0
	s_mov_b32 s2, exec_lo
	v_mov_b32_e32 v101, 0
	s_delay_alu instid0(VALU_DEP_2) | instskip(NEXT) | instid1(VALU_DEP_1)
	v_lshrrev_b32_e32 v1, 16, v1
	v_add_nc_u32_e32 v100, s15, v1
	s_waitcnt lgkmcnt(0)
	s_delay_alu instid0(VALU_DEP_1)
	v_cmpx_gt_u64_e64 s[16:17], v[100:101]
	s_cbranch_execz .LBB0_2
; %bb.1:
	s_clause 0x1
	s_load_b128 s[4:7], s[0:1], 0x18
	s_load_b128 s[8:11], s[0:1], 0x0
	v_mul_lo_u16 v1, 0xf3, v1
	s_load_b64 s[0:1], s[0:1], 0x38
	s_delay_alu instid0(VALU_DEP_1) | instskip(NEXT) | instid1(VALU_DEP_1)
	v_sub_nc_u16 v66, v0, v1
	v_and_b32_e32 v111, 0xffff, v66
	s_waitcnt lgkmcnt(0)
	s_load_b128 s[12:15], s[4:5], 0x0
	s_waitcnt lgkmcnt(0)
	v_mad_u64_u32 v[0:1], null, s14, v100, 0
	v_mad_u64_u32 v[2:3], null, s12, v111, 0
	s_mul_hi_u32 s3, s12, 0xf30
	s_mul_i32 s4, s12, 0xf30
	s_delay_alu instid0(VALU_DEP_1) | instskip(NEXT) | instid1(VALU_DEP_1)
	v_mad_u64_u32 v[4:5], null, s15, v100, v[1:2]
	v_dual_mov_b32 v1, v4 :: v_dual_lshlrev_b32 v112, 3, v111
	s_delay_alu instid0(VALU_DEP_3) | instskip(NEXT) | instid1(VALU_DEP_2)
	v_mad_u64_u32 v[5:6], null, s13, v111, v[3:4]
	v_add_co_u32 v118, s2, s8, v112
	s_delay_alu instid0(VALU_DEP_1) | instskip(NEXT) | instid1(VALU_DEP_4)
	v_add_co_ci_u32_e64 v119, null, s9, 0, s2
	v_lshlrev_b64 v[0:1], 3, v[0:1]
	s_delay_alu instid0(VALU_DEP_3) | instskip(SKIP_1) | instid1(VALU_DEP_4)
	v_add_co_u32 v10, vcc_lo, 0x1000, v118
	v_mov_b32_e32 v3, v5
	v_add_co_ci_u32_e32 v11, vcc_lo, 0, v119, vcc_lo
	v_add_co_u32 v4, vcc_lo, 0x2000, v118
	v_add_co_ci_u32_e32 v5, vcc_lo, 0, v119, vcc_lo
	s_delay_alu instid0(VALU_DEP_4) | instskip(SKIP_3) | instid1(VALU_DEP_2)
	v_lshlrev_b64 v[2:3], 3, v[2:3]
	v_add_co_u32 v0, vcc_lo, s18, v0
	v_add_co_ci_u32_e32 v1, vcc_lo, s19, v1, vcc_lo
	s_mul_i32 s2, s13, 0xf30
	v_add_co_u32 v0, vcc_lo, v0, v2
	s_delay_alu instid0(VALU_DEP_2) | instskip(SKIP_1) | instid1(VALU_DEP_2)
	v_add_co_ci_u32_e32 v1, vcc_lo, v1, v3, vcc_lo
	s_add_i32 s3, s3, s2
	v_add_co_u32 v6, vcc_lo, v0, s4
	s_delay_alu instid0(VALU_DEP_2) | instskip(SKIP_2) | instid1(VALU_DEP_4)
	v_add_co_ci_u32_e32 v7, vcc_lo, s3, v1, vcc_lo
	v_add_co_u32 v12, vcc_lo, 0x3000, v118
	v_add_co_ci_u32_e32 v13, vcc_lo, 0, v119, vcc_lo
	v_add_co_u32 v8, vcc_lo, v6, s4
	s_clause 0x2
	global_load_b64 v[82:83], v112, s[8:9]
	global_load_b64 v[84:85], v112, s[8:9] offset:3888
	global_load_b64 v[80:81], v112, s[8:9] offset:1944
	s_clause 0x1
	global_load_b64 v[2:3], v[0:1], off
	global_load_b64 v[0:1], v[6:7], off
	v_add_co_ci_u32_e32 v9, vcc_lo, s3, v7, vcc_lo
	global_load_b64 v[86:87], v[4:5], off offset:3472
	global_load_b64 v[6:7], v[8:9], off
	s_clause 0x1
	global_load_b64 v[90:91], v[10:11], off offset:3680
	global_load_b64 v[88:89], v[12:13], off offset:3264
	v_add_co_u32 v16, vcc_lo, 0x4000, v118
	v_add_co_ci_u32_e32 v17, vcc_lo, 0, v119, vcc_lo
	v_add_co_u32 v14, vcc_lo, v8, s4
	v_add_co_ci_u32_e32 v15, vcc_lo, s3, v9, vcc_lo
	s_mul_i32 s2, s13, 0xffffbba8
	s_delay_alu instid0(VALU_DEP_2) | instskip(NEXT) | instid1(VALU_DEP_2)
	v_add_co_u32 v20, vcc_lo, v14, s4
	v_add_co_ci_u32_e32 v21, vcc_lo, s3, v15, vcc_lo
	s_sub_i32 s2, s2, s12
	s_delay_alu instid0(VALU_DEP_2) | instskip(NEXT) | instid1(VALU_DEP_2)
	v_add_co_u32 v22, vcc_lo, v20, s4
	v_add_co_ci_u32_e32 v23, vcc_lo, s3, v21, vcc_lo
	s_clause 0x1
	global_load_b64 v[18:19], v[14:15], off
	global_load_b64 v[8:9], v[20:21], off
	v_add_co_u32 v105, vcc_lo, 0x5000, v118
	v_mad_u64_u32 v[24:25], null, 0xffffbba8, s12, v[22:23]
	v_add_co_ci_u32_e32 v106, vcc_lo, 0, v119, vcc_lo
	v_add_nc_u32_e32 v114, 0x2d80, v112
	v_add_nc_u32_e32 v113, 0x3c80, v112
	;; [unrolled: 1-line block ×4, first 2 shown]
	v_add_co_u32 v67, s2, 0xf3, v111
	s_delay_alu instid0(VALU_DEP_1) | instskip(SKIP_1) | instid1(VALU_DEP_2)
	v_add_co_ci_u32_e64 v26, null, 0, 0, s2
	s_waitcnt vmcnt(6)
	v_dual_mul_f32 v30, v0, v85 :: v_dual_and_b32 v31, 0xffff, v67
	v_mul_f32_e32 v29, v1, v85
	s_delay_alu instid0(VALU_DEP_2) | instskip(NEXT) | instid1(VALU_DEP_3)
	v_mul_u32_u24_e32 v28, 0xaaab, v31
	v_fma_f32 v30, v1, v84, -v30
	s_waitcnt vmcnt(3)
	s_delay_alu instid0(VALU_DEP_3)
	v_dual_fmac_f32 v29, v0, v84 :: v_dual_mul_f32 v0, v7, v91
	s_clause 0x2
	global_load_b64 v[96:97], v[16:17], off offset:3056
	global_load_b64 v[94:95], v[10:11], off offset:1736
	;; [unrolled: 1-line block ×3, first 2 shown]
	global_load_b64 v[20:21], v[22:23], off
	global_load_b64 v[22:23], v[24:25], off
	v_add_co_u32 v4, vcc_lo, v24, s4
	v_add_co_ci_u32_e32 v5, vcc_lo, s3, v25, vcc_lo
	global_load_b64 v[98:99], v[12:13], off offset:1320
	v_add_co_u32 v10, vcc_lo, v4, s4
	v_add_co_ci_u32_e32 v11, vcc_lo, s3, v5, vcc_lo
	global_load_b64 v[12:13], v[4:5], off
	v_add_co_u32 v4, vcc_lo, v10, s4
	v_add_co_ci_u32_e32 v5, vcc_lo, s3, v11, vcc_lo
	global_load_b64 v[14:15], v[10:11], off
	;; [unrolled: 3-line block ×3, first 2 shown]
	v_add_co_u32 v24, vcc_lo, v10, s4
	v_add_co_ci_u32_e32 v25, vcc_lo, s3, v11, vcc_lo
	global_load_b64 v[101:102], v[16:17], off offset:1112
	global_load_b64 v[10:11], v[10:11], off
	global_load_b64 v[103:104], v[105:106], off offset:904
	global_load_b64 v[16:17], v[24:25], off
	v_and_b32_e32 v24, 0xff, v66
	v_mul_lo_u16 v25, v66, 6
	v_lshrrev_b32_e32 v33, 18, v28
	v_dual_mul_f32 v28, v2, v83 :: v_dual_add_nc_u32 v115, 0x1e00, v112
	v_fmac_f32_e32 v0, v6, v90
	v_mul_lo_u16 v27, 0xab, v24
	v_and_b32_e32 v25, 0xffff, v25
	s_delay_alu instid0(VALU_DEP_4)
	v_fma_f32 v28, v3, v82, -v28
	s_waitcnt vmcnt(14)
	v_mul_f32_e32 v36, v18, v87
	v_mul_lo_u16 v35, v33, 6
	v_lshrrev_b16 v32, 10, v27
	v_mul_f32_e32 v27, v3, v83
	s_waitcnt vmcnt(13)
	v_dual_mul_f32 v3, v6, v91 :: v_dual_mul_f32 v6, v9, v89
	s_load_b128 s[4:7], s[6:7], 0x0
	v_mul_lo_u16 v34, v32, 6
	v_dual_fmac_f32 v27, v2, v82 :: v_dual_mul_f32 v2, v19, v87
	s_delay_alu instid0(VALU_DEP_3) | instskip(SKIP_2) | instid1(VALU_DEP_4)
	v_fmac_f32_e32 v6, v8, v88
	v_lshlrev_b32_e32 v136, 3, v25
	v_add_co_u32 v68, null, 0x2d9, v111
	v_fmac_f32_e32 v2, v18, v86
	v_add_co_u32 v69, null, 0x1e6, v111
	v_cmp_gt_u16_e32 vcc_lo, 0x51, v66
	s_delay_alu instid0(VALU_DEP_4)
	v_and_b32_e32 v65, 0xffff, v68
	s_waitcnt lgkmcnt(0)
	s_mul_i32 s3, s5, 0xf30
	s_waitcnt vmcnt(8)
	v_mul_f32_e32 v18, v23, v81
	v_fma_f32 v1, v7, v90, -v3
	v_mul_f32_e32 v7, v8, v89
	v_fma_f32 v3, v19, v86, -v36
	v_mul_f32_e32 v8, v21, v97
	v_dual_fmac_f32 v18, v22, v80 :: v_dual_mul_f32 v19, v20, v97
	v_mul_f32_e32 v36, v22, v81
	v_fma_f32 v7, v9, v88, -v7
	s_delay_alu instid0(VALU_DEP_4) | instskip(NEXT) | instid1(VALU_DEP_4)
	v_fmac_f32_e32 v8, v20, v96
	v_fma_f32 v9, v21, v96, -v19
	ds_store_b64 v112, v[29:30] offset:3888
	ds_store_b64 v112, v[0:1] offset:7776
	;; [unrolled: 1-line block ×5, first 2 shown]
	s_waitcnt vmcnt(6)
	v_mul_f32_e32 v0, v13, v95
	v_mul_f32_e32 v1, v12, v95
	s_waitcnt vmcnt(5)
	v_mul_f32_e32 v3, v14, v93
	v_fma_f32 v19, v23, v80, -v36
	v_sub_nc_u16 v29, v67, v35
	v_mul_f32_e32 v2, v15, v93
	v_fma_f32 v1, v13, v94, -v1
	s_waitcnt vmcnt(4)
	v_mul_f32_e32 v7, v4, v99
	v_mul_f32_e32 v6, v5, v99
	ds_store_2addr_b64 v112, v[27:28], v[18:19] offset1:243
	s_waitcnt vmcnt(2)
	v_mul_f32_e32 v9, v10, v102
	v_mul_u32_u24_e32 v28, 6, v67
	v_fmac_f32_e32 v0, v12, v94
	v_fmac_f32_e32 v6, v4, v98
	v_mul_f32_e32 v4, v11, v102
	s_waitcnt vmcnt(0)
	v_mul_f32_e32 v8, v17, v104
	v_mul_f32_e32 v12, v16, v104
	v_sub_nc_u16 v27, v66, v34
	v_mul_lo_u16 v34, v29, 40
	v_fmac_f32_e32 v2, v14, v92
	v_fma_f32 v3, v15, v92, -v3
	v_fma_f32 v7, v5, v98, -v7
	v_fmac_f32_e32 v4, v10, v101
	v_fma_f32 v5, v11, v101, -v9
	v_fmac_f32_e32 v8, v16, v103
	v_fma_f32 v9, v17, v103, -v12
	v_lshlrev_b32_e32 v135, 3, v28
	v_and_b32_e32 v25, 0xffff, v34
	ds_store_b64 v112, v[0:1] offset:5832
	ds_store_b64 v112, v[2:3] offset:9720
	;; [unrolled: 1-line block ×5, first 2 shown]
	s_waitcnt lgkmcnt(0)
	s_barrier
	buffer_gl0_inv
	ds_load_2addr_b64 v[0:3], v112 offset1:243
	ds_load_2addr_b64 v[4:7], v115 offset0:12 offset1:255
	ds_load_2addr_b64 v[8:11], v113 offset0:8 offset1:251
	v_add_nc_u32_e32 v116, 0x4bc0, v112
	v_and_b32_e32 v30, 0xff, v27
	s_waitcnt lgkmcnt(1)
	v_add_f32_e32 v45, v3, v7
	s_waitcnt lgkmcnt(0)
	v_add_f32_e32 v35, v4, v8
	ds_load_2addr_b64 v[12:15], v117 offset0:6 offset1:249
	ds_load_2addr_b64 v[16:19], v114 offset0:2 offset1:245
	ds_load_2addr_b64 v[20:23], v116 offset0:6 offset1:249
	v_add_f32_e32 v34, v0, v4
	v_sub_f32_e32 v36, v5, v9
	v_add_f32_e32 v37, v1, v5
	v_add_f32_e32 v5, v5, v9
	;; [unrolled: 1-line block ×3, first 2 shown]
	v_fma_f32 v0, -0.5, v35, v0
	s_delay_alu instid0(VALU_DEP_4) | instskip(NEXT) | instid1(VALU_DEP_4)
	v_dual_sub_f32 v4, v4, v8 :: v_dual_add_f32 v9, v37, v9
	v_fma_f32 v1, -0.5, v5, v1
	v_add_f32_e32 v35, v45, v11
	v_mad_u64_u32 v[27:28], null, v30, 40, s[10:11]
	s_waitcnt lgkmcnt(0)
	s_barrier
	buffer_gl0_inv
	v_add_f32_e32 v49, v15, v19
	v_dual_add_f32 v39, v16, v20 :: v_dual_add_f32 v46, v14, v18
	v_sub_f32_e32 v44, v7, v11
	v_dual_add_f32 v7, v7, v11 :: v_dual_add_f32 v38, v12, v16
	v_dual_add_f32 v41, v13, v17 :: v_dual_add_f32 v42, v2, v6
	v_add_f32_e32 v47, v18, v22
	s_delay_alu instid0(VALU_DEP_3)
	v_dual_fmac_f32 v3, -0.5, v7 :: v_dual_sub_f32 v40, v17, v21
	v_dual_add_f32 v17, v17, v21 :: v_dual_sub_f32 v48, v19, v23
	v_add_f32_e32 v19, v19, v23
	v_fma_f32 v2, -0.5, v43, v2
	v_add_f32_e32 v7, v46, v22
	v_add_f32_e32 v8, v34, v8
	v_fma_f32 v34, -0.5, v39, v12
	v_sub_f32_e32 v16, v16, v20
	v_dual_sub_f32 v6, v6, v10 :: v_dual_fmac_f32 v15, -0.5, v19
	v_add_f32_e32 v20, v38, v20
	v_fma_f32 v17, -0.5, v17, v13
	v_dual_add_f32 v12, v41, v21 :: v_dual_add_f32 v21, v42, v10
	v_dual_sub_f32 v18, v18, v22 :: v_dual_fmamk_f32 v37, v40, 0x3f5db3d7, v34
	v_add_f32_e32 v22, v49, v23
	v_fma_f32 v14, -0.5, v47, v14
	v_fmamk_f32 v23, v36, 0x3f5db3d7, v0
	v_fmac_f32_e32 v0, 0xbf5db3d7, v36
	v_fmac_f32_e32 v34, 0xbf5db3d7, v40
	v_fmamk_f32 v38, v16, 0xbf5db3d7, v17
	v_fmac_f32_e32 v17, 0x3f5db3d7, v16
	v_dual_sub_f32 v11, v9, v12 :: v_dual_fmamk_f32 v36, v4, 0xbf5db3d7, v1
	v_add_f32_e32 v5, v9, v12
	v_fmac_f32_e32 v1, 0x3f5db3d7, v4
	v_fmamk_f32 v39, v44, 0x3f5db3d7, v2
	v_fmamk_f32 v40, v6, 0xbf5db3d7, v3
	v_dual_fmac_f32 v3, 0x3f5db3d7, v6 :: v_dual_add_f32 v4, v8, v20
	v_sub_f32_e32 v10, v8, v20
	v_fmamk_f32 v8, v18, 0xbf5db3d7, v15
	v_fmac_f32_e32 v15, 0x3f5db3d7, v18
	v_add_f32_e32 v13, v35, v22
	v_sub_f32_e32 v19, v35, v22
	v_mul_f32_e32 v35, 0xbf5db3d7, v37
	s_delay_alu instid0(VALU_DEP_4) | instskip(SKIP_2) | instid1(VALU_DEP_4)
	v_dual_fmamk_f32 v6, v48, 0x3f5db3d7, v14 :: v_dual_mul_f32 v45, -0.5, v15
	v_fmac_f32_e32 v14, 0xbf5db3d7, v48
	v_dual_fmac_f32 v2, 0xbf5db3d7, v44 :: v_dual_mul_f32 v41, -0.5, v17
	v_dual_fmac_f32 v35, 0.5, v38 :: v_dual_add_f32 v12, v21, v7
	s_delay_alu instid0(VALU_DEP_3) | instskip(SKIP_1) | instid1(VALU_DEP_4)
	v_mul_f32_e32 v43, -0.5, v14
	v_mul_f32_e32 v16, 0x3f5db3d7, v38
	v_dual_sub_f32 v18, v21, v7 :: v_dual_fmac_f32 v41, 0xbf5db3d7, v34
	v_mul_f32_e32 v21, -0.5, v34
	v_dual_mul_f32 v44, 0xbf5db3d7, v6 :: v_dual_add_f32 v7, v36, v35
	s_delay_alu instid0(VALU_DEP_3) | instskip(SKIP_2) | instid1(VALU_DEP_3)
	v_dual_mul_f32 v42, 0x3f5db3d7, v8 :: v_dual_add_f32 v9, v1, v41
	v_dual_fmac_f32 v43, 0x3f5db3d7, v15 :: v_dual_fmac_f32 v16, 0.5, v37
	v_fmac_f32_e32 v45, 0xbf5db3d7, v14
	v_dual_fmac_f32 v21, 0x3f5db3d7, v17 :: v_dual_fmac_f32 v42, 0.5, v6
	v_fmac_f32_e32 v44, 0.5, v8
	s_delay_alu instid0(VALU_DEP_4) | instskip(SKIP_1) | instid1(VALU_DEP_4)
	v_add_f32_e32 v6, v23, v16
	v_sub_f32_e32 v20, v23, v16
	v_add_f32_e32 v8, v0, v21
	v_sub_f32_e32 v22, v0, v21
	v_sub_f32_e32 v21, v36, v35
	;; [unrolled: 1-line block ×3, first 2 shown]
	v_add_f32_e32 v17, v3, v45
	v_dual_add_f32 v14, v39, v42 :: v_dual_add_f32 v15, v40, v44
	v_dual_add_f32 v16, v2, v43 :: v_dual_sub_f32 v1, v40, v44
	v_sub_f32_e32 v0, v39, v42
	v_dual_sub_f32 v2, v2, v43 :: v_dual_sub_f32 v3, v3, v45
	ds_store_b128 v136, v[4:7]
	ds_store_b128 v136, v[8:11] offset:16
	ds_store_b128 v136, v[20:23] offset:32
	ds_store_b128 v135, v[12:15]
	ds_store_b128 v135, v[16:19] offset:16
	ds_store_b128 v135, v[0:3] offset:32
	v_add_co_u32 v0, s2, s10, v25
	s_delay_alu instid0(VALU_DEP_1)
	v_add_co_ci_u32_e64 v1, null, s11, 0, s2
	s_waitcnt lgkmcnt(0)
	s_barrier
	buffer_gl0_inv
	s_clause 0x5
	global_load_b128 v[60:63], v[27:28], off
	global_load_b128 v[48:51], v[27:28], off offset:16
	global_load_b64 v[107:108], v[27:28], off offset:32
	global_load_b128 v[56:59], v[0:1], off
	global_load_b128 v[52:55], v[0:1], off offset:16
	global_load_b64 v[109:110], v[0:1], off offset:32
	v_mul_lo_u16 v0, v24, 57
	v_and_b32_e32 v64, 0xffff, v69
	v_mul_u32_u24_e32 v3, 0xe38f, v65
	v_and_b32_e32 v4, 0xffff, v32
	ds_load_2addr_b64 v[8:11], v114 offset0:2 offset1:245
	v_lshrrev_b16 v25, 11, v0
	v_mul_u32_u24_e32 v0, 0xe38f, v31
	v_mul_u32_u24_e32 v1, 0xe38f, v64
	v_lshrrev_b32_e32 v71, 21, v3
	v_mad_u16 v12, v33, 36, v29
	v_mul_lo_u16 v2, v25, 36
	v_lshrrev_b32_e32 v31, 21, v0
	v_lshrrev_b32_e32 v70, 21, v1
	v_mul_u32_u24_e32 v1, 36, v4
	ds_load_2addr_b64 v[4:7], v115 offset0:12 offset1:255
	v_sub_nc_u16 v0, v66, v2
	v_mul_lo_u16 v2, v31, 36
	v_mul_lo_u16 v3, v70, 36
	v_add_lshl_u32 v128, v1, v30, 3
	s_delay_alu instid0(VALU_DEP_4) | instskip(SKIP_3) | instid1(VALU_DEP_3)
	v_and_b32_e32 v72, 0xff, v0
	v_mul_lo_u16 v0, v71, 36
	v_sub_nc_u16 v30, v67, v2
	v_sub_nc_u16 v73, v69, v3
	;; [unrolled: 1-line block ×3, first 2 shown]
	ds_load_2addr_b64 v[0:3], v117 offset0:6 offset1:249
	v_lshlrev_b16 v16, 4, v30
	v_and_b32_e32 v22, 0xffff, v12
	ds_load_2addr_b64 v[12:15], v113 offset0:8 offset1:251
	v_lshlrev_b16 v20, 4, v73
	v_lshlrev_b16 v21, 4, v74
	v_and_b32_e32 v23, 0xffff, v16
	ds_load_2addr_b64 v[16:19], v116 offset0:6 offset1:249
	v_and_b32_e32 v29, 0xffff, v20
	v_and_b32_e32 v33, 0xffff, v21
	v_add_co_u32 v27, s2, s10, v23
	s_delay_alu instid0(VALU_DEP_1)
	v_add_co_ci_u32_e64 v28, null, s11, 0, s2
	s_waitcnt vmcnt(2) lgkmcnt(0)
	v_dual_mul_f32 v42, v17, v108 :: v_dual_mul_f32 v45, v2, v57
	s_waitcnt vmcnt(1)
	v_mul_f32_e32 v77, v15, v55
	v_lshlrev_b32_e32 v129, 3, v22
	ds_load_2addr_b64 v[20:23], v112 offset1:243
	v_dual_mul_f32 v34, v1, v61 :: v_dual_mul_f32 v43, v16, v108
	v_dual_mul_f32 v35, v0, v61 :: v_dual_mul_f32 v36, v5, v63
	v_mul_f32_e32 v75, v11, v53
	v_dual_mul_f32 v37, v4, v63 :: v_dual_mul_f32 v38, v9, v49
	v_mul_f32_e32 v47, v6, v59
	v_dual_mul_f32 v39, v8, v49 :: v_dual_lshlrev_b32 v32, 4, v72
	v_mul_f32_e32 v41, v12, v51
	s_waitcnt vmcnt(0)
	v_dual_mul_f32 v40, v13, v51 :: v_dual_mul_f32 v79, v19, v110
	v_dual_mul_f32 v44, v3, v57 :: v_dual_fmac_f32 v35, v1, v60
	v_dual_mul_f32 v46, v7, v59 :: v_dual_fmac_f32 v37, v5, v62
	v_dual_mul_f32 v76, v10, v53 :: v_dual_fmac_f32 v39, v9, v48
	v_dual_mul_f32 v78, v14, v55 :: v_dual_fmac_f32 v41, v13, v50
	v_dual_mul_f32 v120, v18, v110 :: v_dual_fmac_f32 v43, v17, v107
	v_fma_f32 v34, v0, v60, -v34
	v_fma_f32 v0, v4, v62, -v36
	;; [unrolled: 1-line block ×6, first 2 shown]
	s_waitcnt lgkmcnt(0)
	v_dual_fmac_f32 v45, v3, v56 :: v_dual_add_f32 v12, v21, v37
	v_fma_f32 v2, v6, v58, -v46
	v_fmac_f32_e32 v47, v7, v58
	v_fma_f32 v3, v10, v52, -v75
	v_add_f32_e32 v10, v0, v4
	v_dual_fmac_f32 v76, v11, v52 :: v_dual_sub_f32 v11, v37, v41
	v_fma_f32 v6, v14, v54, -v77
	v_dual_fmac_f32 v78, v15, v54 :: v_dual_add_f32 v9, v20, v0
	v_fma_f32 v7, v18, v109, -v79
	v_dual_fmac_f32 v120, v19, v109 :: v_dual_add_f32 v19, v22, v2
	v_dual_add_f32 v13, v37, v41 :: v_dual_sub_f32 v0, v0, v4
	v_dual_add_f32 v15, v1, v5 :: v_dual_sub_f32 v16, v39, v43
	v_add_f32_e32 v18, v39, v43
	v_dual_add_f32 v14, v34, v1 :: v_dual_add_f32 v17, v35, v39
	v_add_f32_e32 v36, v2, v6
	v_sub_f32_e32 v37, v47, v78
	v_add_f32_e32 v38, v23, v47
	v_dual_add_f32 v39, v47, v78 :: v_dual_sub_f32 v44, v76, v120
	v_dual_sub_f32 v40, v2, v6 :: v_dual_sub_f32 v75, v3, v7
	v_add_f32_e32 v2, v8, v3
	v_dual_add_f32 v42, v3, v7 :: v_dual_add_f32 v47, v76, v120
	v_sub_f32_e32 v1, v1, v5
	v_dual_add_f32 v5, v14, v5 :: v_dual_add_f32 v46, v45, v76
	v_fmac_f32_e32 v35, -0.5, v18
	v_fma_f32 v20, -0.5, v10, v20
	v_fma_f32 v21, -0.5, v13, v21
	v_dual_fmac_f32 v34, -0.5, v15 :: v_dual_add_f32 v3, v9, v4
	v_dual_add_f32 v4, v12, v41 :: v_dual_add_f32 v9, v17, v43
	v_dual_add_f32 v10, v38, v78 :: v_dual_fmac_f32 v45, -0.5, v47
	v_dual_add_f32 v7, v2, v7 :: v_dual_fmac_f32 v8, -0.5, v42
	;; [unrolled: 1-line block ×3, first 2 shown]
	v_fma_f32 v22, -0.5, v36, v22
	v_dual_add_f32 v12, v46, v120 :: v_dual_fmamk_f32 v13, v11, 0x3f5db3d7, v20
	v_dual_fmac_f32 v20, 0xbf5db3d7, v11 :: v_dual_fmamk_f32 v15, v0, 0xbf5db3d7, v21
	v_dual_fmamk_f32 v11, v16, 0x3f5db3d7, v34 :: v_dual_sub_f32 v2, v3, v5
	v_fmac_f32_e32 v34, 0xbf5db3d7, v16
	v_fmamk_f32 v14, v1, 0xbf5db3d7, v35
	v_dual_fmac_f32 v35, 0x3f5db3d7, v1 :: v_dual_fmamk_f32 v36, v37, 0x3f5db3d7, v22
	v_dual_fmac_f32 v21, 0x3f5db3d7, v0 :: v_dual_add_f32 v0, v3, v5
	v_add_f32_e32 v1, v4, v9
	v_sub_f32_e32 v3, v4, v9
	v_fmamk_f32 v9, v44, 0x3f5db3d7, v8
	v_dual_fmac_f32 v8, 0xbf5db3d7, v44 :: v_dual_mul_f32 v17, -0.5, v34
	v_fmamk_f32 v16, v75, 0xbf5db3d7, v45
	v_fmac_f32_e32 v45, 0x3f5db3d7, v75
	v_dual_fmac_f32 v22, 0xbf5db3d7, v37 :: v_dual_fmamk_f32 v37, v40, 0xbf5db3d7, v23
	v_dual_fmac_f32 v23, 0x3f5db3d7, v40 :: v_dual_add_f32 v4, v6, v7
	v_add_f32_e32 v5, v10, v12
	v_sub_f32_e32 v6, v6, v7
	v_dual_sub_f32 v7, v10, v12 :: v_dual_mul_f32 v12, 0x3f5db3d7, v14
	v_dual_mul_f32 v18, 0xbf5db3d7, v11 :: v_dual_mul_f32 v39, -0.5, v8
	v_dual_mul_f32 v19, -0.5, v35 :: v_dual_mul_f32 v38, 0x3f5db3d7, v16
	v_mul_f32_e32 v40, 0xbf5db3d7, v9
	s_delay_alu instid0(VALU_DEP_4) | instskip(NEXT) | instid1(VALU_DEP_4)
	v_dual_mul_f32 v41, -0.5, v45 :: v_dual_fmac_f32 v12, 0.5, v11
	v_dual_fmac_f32 v17, 0x3f5db3d7, v35 :: v_dual_fmac_f32 v18, 0.5, v14
	s_delay_alu instid0(VALU_DEP_4) | instskip(NEXT) | instid1(VALU_DEP_3)
	v_dual_fmac_f32 v19, 0xbf5db3d7, v34 :: v_dual_fmac_f32 v38, 0.5, v9
	v_fmac_f32_e32 v41, 0xbf5db3d7, v8
	v_dual_fmac_f32 v39, 0x3f5db3d7, v45 :: v_dual_fmac_f32 v40, 0.5, v16
	s_delay_alu instid0(VALU_DEP_4) | instskip(NEXT) | instid1(VALU_DEP_4)
	v_dual_add_f32 v8, v13, v12 :: v_dual_add_f32 v9, v15, v18
	v_dual_add_f32 v10, v20, v17 :: v_dual_add_f32 v11, v21, v19
	v_dual_sub_f32 v12, v13, v12 :: v_dual_sub_f32 v13, v15, v18
	v_dual_sub_f32 v14, v20, v17 :: v_dual_sub_f32 v15, v21, v19
	v_dual_add_f32 v16, v36, v38 :: v_dual_add_f32 v17, v37, v40
	v_dual_add_f32 v18, v22, v39 :: v_dual_add_f32 v19, v23, v41
	s_barrier
	buffer_gl0_inv
	v_dual_sub_f32 v20, v36, v38 :: v_dual_sub_f32 v21, v37, v40
	v_dual_sub_f32 v22, v22, v39 :: v_dual_sub_f32 v23, v23, v41
	ds_store_2addr_b64 v128, v[0:1], v[8:9] offset1:6
	ds_store_2addr_b64 v128, v[10:11], v[2:3] offset0:12 offset1:18
	ds_store_2addr_b64 v128, v[12:13], v[14:15] offset0:24 offset1:30
	ds_store_2addr_b64 v129, v[4:5], v[16:17] offset1:6
	ds_store_2addr_b64 v129, v[18:19], v[6:7] offset0:12 offset1:18
	ds_store_2addr_b64 v129, v[20:21], v[22:23] offset0:24 offset1:30
	s_waitcnt lgkmcnt(0)
	s_barrier
	buffer_gl0_inv
	global_load_b128 v[44:47], v32, s[10:11] offset:240
	v_add_co_u32 v0, s2, s10, v29
	s_delay_alu instid0(VALU_DEP_1) | instskip(SKIP_1) | instid1(VALU_DEP_1)
	v_add_co_ci_u32_e64 v1, null, s11, 0, s2
	v_add_co_u32 v2, s2, s10, v33
	v_add_co_ci_u32_e64 v3, null, s11, 0, s2
	s_clause 0x2
	global_load_b128 v[40:43], v[27:28], off offset:240
	global_load_b128 v[36:39], v[0:1], off offset:240
	;; [unrolled: 1-line block ×3, first 2 shown]
	v_and_b32_e32 v4, 0xffff, v25
	v_mad_u16 v5, 0x6c, v71, v74
	v_lshrrev_b16 v1, 2, v69
	v_lshrrev_b16 v2, 2, v68
	v_mul_lo_u16 v0, v24, 19
	v_mul_u32_u24_e32 v4, 0x6c, v4
	v_and_b32_e32 v10, 0xffff, v5
	s_delay_alu instid0(VALU_DEP_4) | instskip(NEXT) | instid1(VALU_DEP_4)
	v_and_b32_e32 v2, 0xffff, v2
	v_lshrrev_b16 v27, 11, v0
	s_delay_alu instid0(VALU_DEP_4) | instskip(SKIP_4) | instid1(VALU_DEP_4)
	v_add_lshl_u32 v121, v4, v72, 3
	v_mad_u16 v4, 0x6c, v70, v73
	v_lshrrev_b16 v0, 2, v67
	v_mul_u32_u24_e32 v2, 0x4bdb, v2
	v_mul_lo_u16 v3, 0x6c, v27
	v_and_b32_e32 v9, 0xffff, v4
	ds_load_2addr_b64 v[4:7], v113 offset0:8 offset1:251
	v_and_b32_e32 v1, 0xffff, v1
	v_and_b32_e32 v0, 0xffff, v0
	v_lshrrev_b32_e32 v76, 19, v2
	v_sub_nc_u16 v3, v66, v3
	s_delay_alu instid0(VALU_DEP_2) | instskip(NEXT) | instid1(VALU_DEP_2)
	v_mul_lo_u16 v2, 0x6c, v76
	v_and_b32_e32 v28, 0xff, v3
	v_mad_u16 v3, 0x6c, v31, v30
	s_delay_alu instid0(VALU_DEP_3) | instskip(NEXT) | instid1(VALU_DEP_2)
	v_sub_nc_u16 v73, v68, v2
	v_and_b32_e32 v8, 0xffff, v3
	s_delay_alu instid0(VALU_DEP_2) | instskip(SKIP_1) | instid1(VALU_DEP_1)
	v_lshlrev_b16 v13, 4, v73
	s_waitcnt vmcnt(3) lgkmcnt(0)
	v_dual_mul_f32 v78, v5, v47 :: v_dual_and_b32 v71, 0xffff, v13
	v_mul_u32_u24_e32 v1, 0x4bdb, v1
	v_mul_f32_e32 v79, v4, v47
	v_mul_u32_u24_e32 v0, 0x4bdb, v0
	s_delay_alu instid0(VALU_DEP_3) | instskip(NEXT) | instid1(VALU_DEP_3)
	v_lshrrev_b32_e32 v75, 19, v1
	v_fmac_f32_e32 v79, v5, v46
	s_delay_alu instid0(VALU_DEP_3)
	v_lshrrev_b32_e32 v29, 19, v0
	s_waitcnt vmcnt(2)
	v_mul_f32_e32 v126, v7, v43
	v_mul_f32_e32 v127, v6, v43
	v_mul_lo_u16 v1, 0x6c, v75
	v_mul_lo_u16 v0, 0x6c, v29
	s_delay_alu instid0(VALU_DEP_3) | instskip(NEXT) | instid1(VALU_DEP_3)
	v_fmac_f32_e32 v127, v7, v42
	v_sub_nc_u16 v31, v69, v1
	s_delay_alu instid0(VALU_DEP_3) | instskip(SKIP_4) | instid1(VALU_DEP_2)
	v_sub_nc_u16 v30, v67, v0
	ds_load_2addr_b64 v[0:3], v115 offset0:12 offset1:255
	v_lshlrev_b32_e32 v123, 3, v8
	v_lshlrev_b16 v12, 4, v31
	v_lshlrev_b16 v11, 4, v30
	v_and_b32_e32 v70, 0xffff, v12
	ds_load_2addr_b64 v[12:15], v116 offset0:6 offset1:249
	s_waitcnt lgkmcnt(1)
	v_mul_f32_e32 v74, v1, v45
	v_lshlrev_b32_e32 v122, 3, v9
	v_dual_mul_f32 v77, v0, v45 :: v_dual_and_b32 v16, 0xffff, v11
	v_mul_f32_e32 v125, v2, v41
	v_mul_f32_e32 v124, v3, v41
	v_fma_f32 v0, v0, v44, -v74
	s_delay_alu instid0(VALU_DEP_4)
	v_fmac_f32_e32 v77, v1, v44
	s_waitcnt vmcnt(1) lgkmcnt(0)
	v_dual_mul_f32 v133, v12, v39 :: v_dual_lshlrev_b32 v120, 3, v10
	v_fmac_f32_e32 v125, v3, v40
	ds_load_2addr_b64 v[8:11], v114 offset0:2 offset1:245
	v_add_co_u32 v24, s2, s10, v16
	ds_load_2addr_b64 v[16:19], v112 offset1:243
	ds_load_2addr_b64 v[20:23], v117 offset0:6 offset1:249
	v_lshlrev_b32_e32 v72, 4, v28
	s_waitcnt vmcnt(0)
	v_dual_mul_f32 v138, v15, v35 :: v_dual_fmac_f32 v133, v13, v38
	v_mul_f32_e32 v139, v14, v35
	v_fma_f32 v1, v2, v40, -v124
	v_fma_f32 v2, v4, v46, -v78
	;; [unrolled: 1-line block ×3, first 2 shown]
	s_delay_alu instid0(VALU_DEP_4)
	v_dual_add_f32 v78, v125, v127 :: v_dual_fmac_f32 v139, v15, v34
	v_sub_f32_e32 v74, v125, v127
	v_add_co_ci_u32_e64 v25, null, s11, 0, s2
	s_waitcnt lgkmcnt(0)
	s_barrier
	buffer_gl0_inv
	v_mul_f32_e32 v130, v9, v37
	v_mul_f32_e32 v131, v8, v37
	v_dual_mul_f32 v137, v10, v33 :: v_dual_mul_f32 v132, v13, v39
	v_mul_f32_e32 v134, v11, v33
	s_delay_alu instid0(VALU_DEP_4) | instskip(NEXT) | instid1(VALU_DEP_4)
	v_fma_f32 v4, v8, v36, -v130
	v_fmac_f32_e32 v131, v9, v36
	s_delay_alu instid0(VALU_DEP_4)
	v_fmac_f32_e32 v137, v11, v32
	v_fma_f32 v5, v12, v38, -v132
	v_fma_f32 v6, v10, v32, -v134
	;; [unrolled: 1-line block ×3, first 2 shown]
	v_add_f32_e32 v7, v16, v0
	v_dual_add_f32 v8, v0, v2 :: v_dual_sub_f32 v13, v77, v79
	v_dual_add_f32 v11, v77, v79 :: v_dual_add_f32 v126, v4, v5
	v_dual_add_f32 v9, v17, v77 :: v_dual_sub_f32 v14, v0, v2
	v_dual_add_f32 v12, v18, v1 :: v_dual_add_f32 v15, v1, v3
	v_sub_f32_e32 v130, v131, v133
	v_dual_add_f32 v77, v19, v125 :: v_dual_add_f32 v132, v21, v131
	v_add_f32_e32 v131, v131, v133
	v_dual_sub_f32 v134, v4, v5 :: v_dual_sub_f32 v141, v137, v139
	v_add_f32_e32 v138, v22, v6
	v_add_f32_e32 v140, v6, v10
	v_dual_add_f32 v142, v23, v137 :: v_dual_sub_f32 v143, v6, v10
	v_dual_add_f32 v137, v137, v139 :: v_dual_add_f32 v0, v7, v2
	v_fma_f32 v6, -0.5, v8, v16
	v_fma_f32 v7, -0.5, v11, v17
	v_dual_sub_f32 v124, v1, v3 :: v_dual_add_f32 v125, v20, v4
	v_dual_add_f32 v2, v12, v3 :: v_dual_fmac_f32 v19, -0.5, v78
	v_fma_f32 v18, -0.5, v15, v18
	v_add_f32_e32 v1, v9, v79
	v_fma_f32 v8, -0.5, v126, v20
	v_fma_f32 v9, -0.5, v131, v21
	;; [unrolled: 1-line block ×3, first 2 shown]
	v_dual_fmac_f32 v23, -0.5, v137 :: v_dual_fmamk_f32 v12, v13, 0x3f5db3d7, v6
	v_dual_fmac_f32 v6, 0xbf5db3d7, v13 :: v_dual_fmamk_f32 v13, v14, 0xbf5db3d7, v7
	v_dual_fmac_f32 v7, 0x3f5db3d7, v14 :: v_dual_fmamk_f32 v14, v74, 0x3f5db3d7, v18
	v_dual_add_f32 v3, v77, v127 :: v_dual_fmac_f32 v18, 0xbf5db3d7, v74
	v_fmamk_f32 v15, v124, 0xbf5db3d7, v19
	v_dual_fmac_f32 v19, 0x3f5db3d7, v124 :: v_dual_fmamk_f32 v16, v130, 0x3f5db3d7, v8
	v_dual_add_f32 v4, v125, v5 :: v_dual_add_f32 v11, v142, v139
	v_dual_add_f32 v5, v132, v133 :: v_dual_add_f32 v10, v138, v10
	v_dual_fmac_f32 v8, 0xbf5db3d7, v130 :: v_dual_fmamk_f32 v17, v134, 0xbf5db3d7, v9
	v_dual_fmac_f32 v9, 0x3f5db3d7, v134 :: v_dual_fmamk_f32 v20, v141, 0x3f5db3d7, v22
	v_dual_fmac_f32 v22, 0xbf5db3d7, v141 :: v_dual_fmamk_f32 v21, v143, 0xbf5db3d7, v23
	v_fmac_f32_e32 v23, 0x3f5db3d7, v143
	ds_store_2addr_b64 v121, v[0:1], v[12:13] offset1:36
	ds_store_b64 v121, v[6:7] offset:576
	ds_store_2addr_b64 v123, v[2:3], v[14:15] offset1:36
	ds_store_b64 v123, v[18:19] offset:576
	;; [unrolled: 2-line block ×4, first 2 shown]
	s_waitcnt lgkmcnt(0)
	s_barrier
	buffer_gl0_inv
	s_clause 0x1
	global_load_b128 v[12:15], v72, s[10:11] offset:816
	global_load_b128 v[8:11], v[24:25], off offset:816
	v_add_co_u32 v0, s2, s10, v70
	s_delay_alu instid0(VALU_DEP_1) | instskip(SKIP_1) | instid1(VALU_DEP_1)
	v_add_co_ci_u32_e64 v1, null, s11, 0, s2
	v_add_co_u32 v2, s2, s10, v71
	v_add_co_ci_u32_e64 v3, null, s11, 0, s2
	s_clause 0x1
	global_load_b128 v[4:7], v[0:1], off offset:816
	global_load_b128 v[0:3], v[2:3], off offset:816
	v_add_co_u32 v16, s2, 0xffffffaf, v111
	s_delay_alu instid0(VALU_DEP_1) | instskip(SKIP_2) | instid1(VALU_DEP_3)
	v_add_co_ci_u32_e64 v17, null, 0, -1, s2
	v_mul_u32_u24_e32 v18, 0x6523, v64
	v_mul_u32_u24_e32 v19, 0x6523, v65
	v_dual_cndmask_b32 v64, v16, v67 :: v_dual_cndmask_b32 v65, v17, v26
	v_mad_u16 v24, 0x144, v29, v30
	s_delay_alu instid0(VALU_DEP_4) | instskip(NEXT) | instid1(VALU_DEP_4)
	v_lshrrev_b32_e32 v70, 23, v18
	v_lshrrev_b32_e32 v17, 23, v19
	v_and_b32_e32 v18, 0xffff, v27
	v_mad_u16 v25, 0x144, v75, v31
	v_mad_u16 v26, 0x144, v76, v73
	v_mul_lo_u16 v19, 0x144, v70
	v_mul_lo_u16 v20, 0x144, v17
	v_lshlrev_b64 v[16:17], 4, v[64:65]
	v_mul_u32_u24_e32 v18, 0x144, v18
	s_delay_alu instid0(VALU_DEP_4) | instskip(NEXT) | instid1(VALU_DEP_4)
	v_sub_nc_u16 v71, v69, v19
	v_sub_nc_u16 v65, v68, v20
	s_delay_alu instid0(VALU_DEP_4) | instskip(NEXT) | instid1(VALU_DEP_3)
	v_add_co_u32 v130, vcc_lo, s10, v16
	v_lshlrev_b16 v16, 4, v71
	s_delay_alu instid0(VALU_DEP_3) | instskip(SKIP_3) | instid1(VALU_DEP_4)
	v_lshlrev_b16 v20, 4, v65
	v_add_co_ci_u32_e32 v131, vcc_lo, s11, v17, vcc_lo
	v_add_lshl_u32 v125, v18, v28, 3
	v_cmp_lt_u16_e32 vcc_lo, 0x50, v66
	v_and_b32_e32 v137, 0xffff, v20
	ds_load_2addr_b64 v[20:23], v113 offset0:8 offset1:251
	v_and_b32_e32 v72, 0xffff, v16
	ds_load_2addr_b64 v[16:19], v115 offset0:12 offset1:255
	v_and_b32_e32 v73, 0xffff, v24
	v_and_b32_e32 v74, 0xffff, v25
	;; [unrolled: 1-line block ×3, first 2 shown]
	ds_load_2addr_b64 v[24:27], v114 offset0:2 offset1:245
	ds_load_2addr_b64 v[28:31], v116 offset0:6 offset1:249
	v_lshlrev_b32_e32 v134, 4, v111
	v_cndmask_b32_e64 v66, 0, 0x3cc, vcc_lo
	s_waitcnt vmcnt(2) lgkmcnt(2)
	v_dual_mul_f32 v140, v21, v15 :: v_dual_mul_f32 v141, v19, v9
	v_dual_mul_f32 v144, v23, v11 :: v_dual_lshlrev_b32 v127, 3, v73
	v_mul_f32_e32 v142, v18, v9
	v_lshlrev_b32_e32 v124, 3, v75
	v_mul_f32_e32 v143, v20, v15
	v_add_co_u32 v132, s2, s10, v72
	v_dual_mul_f32 v145, v22, v11 :: v_dual_lshlrev_b32 v126, 3, v74
	s_waitcnt vmcnt(1) lgkmcnt(1)
	v_mul_f32_e32 v147, v24, v5
	ds_load_2addr_b64 v[72:75], v112 offset1:243
	ds_load_2addr_b64 v[76:79], v117 offset0:6 offset1:249
	v_mul_f32_e32 v138, v17, v13
	v_mul_f32_e32 v139, v16, v13
	s_waitcnt lgkmcnt(2)
	v_dual_mul_f32 v146, v25, v5 :: v_dual_mul_f32 v151, v28, v7
	s_waitcnt vmcnt(0)
	v_dual_mul_f32 v148, v29, v7 :: v_dual_mul_f32 v149, v27, v1
	v_dual_mul_f32 v150, v26, v1 :: v_dual_fmac_f32 v139, v17, v12
	v_dual_mul_f32 v152, v31, v3 :: v_dual_fmac_f32 v143, v21, v14
	;; [unrolled: 1-line block ×3, first 2 shown]
	v_fma_f32 v16, v16, v12, -v138
	v_fma_f32 v17, v18, v8, -v141
	;; [unrolled: 1-line block ×4, first 2 shown]
	v_fmac_f32_e32 v145, v23, v10
	v_fma_f32 v19, v24, v4, -v146
	v_fmac_f32_e32 v147, v25, v4
	v_dual_fmac_f32 v150, v27, v0 :: v_dual_fmac_f32 v151, v29, v6
	v_fma_f32 v22, v28, v6, -v148
	v_fma_f32 v21, v26, v0, -v149
	;; [unrolled: 1-line block ×3, first 2 shown]
	v_sub_f32_e32 v30, v139, v143
	v_dual_add_f32 v25, v139, v143 :: v_dual_add_f32 v140, v17, v20
	s_waitcnt lgkmcnt(1)
	v_dual_add_f32 v26, v72, v16 :: v_dual_fmac_f32 v153, v31, v2
	v_dual_sub_f32 v138, v142, v145 :: v_dual_add_f32 v27, v16, v18
	s_waitcnt lgkmcnt(0)
	v_dual_add_f32 v29, v142, v145 :: v_dual_add_f32 v144, v76, v19
	v_dual_add_f32 v23, v73, v139 :: v_dual_add_f32 v28, v75, v142
	v_dual_sub_f32 v31, v16, v18 :: v_dual_sub_f32 v146, v147, v151
	v_add_f32_e32 v142, v77, v147
	v_dual_add_f32 v147, v147, v151 :: v_dual_sub_f32 v154, v150, v153
	v_add_f32_e32 v149, v19, v22
	v_dual_add_f32 v139, v74, v17 :: v_dual_add_f32 v148, v79, v150
	v_dual_sub_f32 v141, v17, v20 :: v_dual_sub_f32 v152, v19, v22
	v_add_f32_e32 v150, v150, v153
	v_dual_add_f32 v155, v78, v21 :: v_dual_add_f32 v156, v21, v24
	v_dual_sub_f32 v157, v21, v24 :: v_dual_add_f32 v16, v26, v18
	v_fma_f32 v18, -0.5, v27, v72
	v_fma_f32 v19, -0.5, v25, v73
	;; [unrolled: 1-line block ×3, first 2 shown]
	v_dual_fmac_f32 v75, -0.5, v29 :: v_dual_add_f32 v24, v155, v24
	v_fma_f32 v26, -0.5, v149, v76
	v_fma_f32 v27, -0.5, v147, v77
	v_dual_add_f32 v17, v23, v143 :: v_dual_add_f32 v22, v144, v22
	v_dual_add_f32 v21, v28, v145 :: v_dual_add_f32 v20, v139, v20
	v_dual_add_f32 v25, v148, v153 :: v_dual_fmamk_f32 v28, v30, 0x3f5db3d7, v18
	v_fma_f32 v78, -0.5, v156, v78
	v_fmac_f32_e32 v79, -0.5, v150
	v_fmamk_f32 v29, v31, 0xbf5db3d7, v19
	v_dual_add_f32 v23, v142, v151 :: v_dual_fmac_f32 v18, 0xbf5db3d7, v30
	v_dual_fmac_f32 v19, 0x3f5db3d7, v31 :: v_dual_fmamk_f32 v72, v146, 0x3f5db3d7, v26
	v_fmamk_f32 v30, v138, 0x3f5db3d7, v74
	v_dual_fmamk_f32 v31, v141, 0xbf5db3d7, v75 :: v_dual_fmac_f32 v26, 0xbf5db3d7, v146
	v_fmac_f32_e32 v74, 0xbf5db3d7, v138
	v_dual_fmac_f32 v75, 0x3f5db3d7, v141 :: v_dual_fmamk_f32 v76, v154, 0x3f5db3d7, v78
	v_dual_fmamk_f32 v73, v152, 0xbf5db3d7, v27 :: v_dual_fmac_f32 v78, 0xbf5db3d7, v154
	v_add_co_ci_u32_e64 v133, null, s11, 0, s2
	s_barrier
	buffer_gl0_inv
	v_fmac_f32_e32 v27, 0x3f5db3d7, v152
	v_dual_fmamk_f32 v77, v157, 0xbf5db3d7, v79 :: v_dual_lshlrev_b32 v150, 4, v68
	v_fmac_f32_e32 v79, 0x3f5db3d7, v157
	ds_store_2addr_b64 v125, v[16:17], v[28:29] offset1:108
	ds_store_b64 v125, v[18:19] offset:1728
	ds_store_2addr_b64 v127, v[20:21], v[30:31] offset1:108
	ds_store_b64 v127, v[74:75] offset:1728
	;; [unrolled: 2-line block ×4, first 2 shown]
	s_waitcnt lgkmcnt(0)
	s_barrier
	buffer_gl0_inv
	s_clause 0x1
	global_load_b128 v[28:31], v134, s[10:11] offset:2544
	global_load_b128 v[20:23], v[130:131], off offset:2544
	v_add_co_u32 v24, s2, s10, v137
	s_delay_alu instid0(VALU_DEP_1) | instskip(SKIP_4) | instid1(VALU_DEP_1)
	v_add_co_ci_u32_e64 v25, null, s11, 0, s2
	s_clause 0x1
	global_load_b128 v[16:19], v[132:133], off offset:2544
	global_load_b128 v[24:27], v[24:25], off offset:2544
	v_add_co_u32 v72, s2, s10, v134
	v_add_co_ci_u32_e64 v73, null, s11, 0, s2
	v_lshlrev_b32_e32 v74, 4, v67
	s_delay_alu instid0(VALU_DEP_3) | instskip(SKIP_1) | instid1(VALU_DEP_4)
	v_add_co_u32 v78, vcc_lo, 0x1000, v72
	v_add_lshl_u32 v133, v64, v66, 3
	v_add_co_ci_u32_e32 v79, vcc_lo, 0, v73, vcc_lo
	v_mad_u16 v64, 0x3cc, v70, v71
	ds_load_2addr_b64 v[70:73], v113 offset0:8 offset1:251
	v_lshlrev_b32_e32 v149, 4, v69
	ds_load_2addr_b64 v[66:69], v115 offset0:12 offset1:255
	v_add_co_u32 v130, s2, s10, v74
	ds_load_2addr_b64 v[74:77], v114 offset0:2 offset1:245
	ds_load_2addr_b64 v[137:140], v116 offset0:6 offset1:249
	ds_load_2addr_b64 v[141:144], v112 offset1:243
	ds_load_2addr_b64 v[145:148], v117 offset0:6 offset1:249
	v_add_co_ci_u32_e64 v131, null, s11, 0, s2
	v_and_b32_e32 v134, 0xffff, v64
	v_add_co_u32 v64, vcc_lo, 0x1000, v130
	v_and_b32_e32 v132, 0xffff, v65
	s_delay_alu instid0(VALU_DEP_4)
	v_add_co_ci_u32_e32 v65, vcc_lo, 0, v131, vcc_lo
	s_waitcnt vmcnt(0) lgkmcnt(0)
	s_barrier
	buffer_gl0_inv
	v_mul_f32_e32 v153, v71, v31
	v_mul_f32_e32 v131, v66, v29
	;; [unrolled: 1-line block ×4, first 2 shown]
	v_dual_mul_f32 v151, v69, v21 :: v_dual_lshlrev_b32 v134, 3, v134
	v_dual_mul_f32 v130, v67, v29 :: v_dual_mul_f32 v155, v73, v23
	v_dual_mul_f32 v156, v72, v23 :: v_dual_mul_f32 v157, v75, v17
	v_dual_mul_f32 v158, v74, v17 :: v_dual_fmac_f32 v131, v67, v28
	v_dual_mul_f32 v161, v138, v19 :: v_dual_fmac_f32 v154, v71, v30
	v_fmac_f32_e32 v152, v69, v20
	v_mul_f32_e32 v159, v77, v25
	v_fma_f32 v66, v66, v28, -v130
	v_mul_f32_e32 v160, v76, v25
	v_fma_f32 v67, v68, v20, -v151
	;; [unrolled: 2-line block ×4, first 2 shown]
	v_fma_f32 v71, v74, v16, -v157
	v_fmac_f32_e32 v158, v75, v16
	v_add_f32_e32 v75, v131, v154
	v_dual_add_f32 v151, v144, v152 :: v_dual_mul_f32 v162, v137, v19
	v_fmac_f32_e32 v156, v73, v22
	v_fma_f32 v72, v76, v24, -v159
	v_fma_f32 v74, v137, v18, -v161
	;; [unrolled: 1-line block ×3, first 2 shown]
	v_add_f32_e32 v139, v143, v67
	v_dual_add_f32 v68, v142, v131 :: v_dual_sub_f32 v153, v67, v70
	v_add_f32_e32 v73, v141, v66
	v_dual_fmac_f32 v160, v77, v24 :: v_dual_sub_f32 v137, v131, v154
	v_add_f32_e32 v131, v67, v70
	v_fmac_f32_e32 v162, v138, v18
	v_dual_add_f32 v77, v66, v69 :: v_dual_fmac_f32 v130, v140, v26
	v_dual_add_f32 v157, v145, v71 :: v_dual_add_f32 v140, v152, v156
	v_add_f32_e32 v155, v146, v158
	v_dual_sub_f32 v138, v66, v69 :: v_dual_add_f32 v161, v71, v74
	v_dual_sub_f32 v163, v71, v74 :: v_dual_add_f32 v164, v148, v160
	v_dual_add_f32 v67, v68, v154 :: v_dual_add_f32 v154, v147, v72
	v_add_f32_e32 v66, v73, v69
	v_fma_f32 v68, -0.5, v77, v141
	v_fma_f32 v69, -0.5, v75, v142
	v_add_f32_e32 v141, v72, v76
	v_dual_sub_f32 v152, v152, v156 :: v_dual_sub_f32 v159, v158, v162
	v_fma_f32 v143, -0.5, v131, v143
	v_dual_add_f32 v158, v158, v162 :: v_dual_add_f32 v71, v151, v156
	v_sub_f32_e32 v165, v160, v130
	v_dual_add_f32 v160, v160, v130 :: v_dual_fmamk_f32 v131, v138, 0xbf5db3d7, v69
	v_dual_fmac_f32 v144, -0.5, v140 :: v_dual_add_f32 v77, v164, v130
	v_dual_sub_f32 v166, v72, v76 :: v_dual_add_f32 v73, v155, v162
	v_add_f32_e32 v72, v157, v74
	v_fma_f32 v74, -0.5, v161, v145
	v_fma_f32 v147, -0.5, v141, v147
	v_fmamk_f32 v130, v137, 0x3f5db3d7, v68
	v_fmac_f32_e32 v68, 0xbf5db3d7, v137
	v_fmamk_f32 v137, v152, 0x3f5db3d7, v143
	v_fma_f32 v75, -0.5, v158, v146
	v_fmac_f32_e32 v148, -0.5, v160
	v_dual_add_f32 v76, v154, v76 :: v_dual_fmac_f32 v69, 0x3f5db3d7, v138
	v_dual_add_f32 v70, v139, v70 :: v_dual_fmac_f32 v143, 0xbf5db3d7, v152
	v_fmamk_f32 v138, v153, 0xbf5db3d7, v144
	v_dual_fmac_f32 v144, 0x3f5db3d7, v153 :: v_dual_fmamk_f32 v141, v165, 0x3f5db3d7, v147
	v_dual_fmamk_f32 v139, v159, 0x3f5db3d7, v74 :: v_dual_lshlrev_b32 v132, 3, v132
	v_fmamk_f32 v140, v163, 0xbf5db3d7, v75
	v_fmac_f32_e32 v74, 0xbf5db3d7, v159
	v_fmac_f32_e32 v75, 0x3f5db3d7, v163
	v_dual_fmac_f32 v147, 0xbf5db3d7, v165 :: v_dual_fmamk_f32 v142, v166, 0xbf5db3d7, v148
	v_fmac_f32_e32 v148, 0x3f5db3d7, v166
	ds_store_b64 v112, v[66:67]
	ds_store_b64 v112, v[130:131] offset:2592
	ds_store_b64 v112, v[68:69] offset:5184
	ds_store_b64 v133, v[70:71]
	ds_store_b64 v133, v[143:144] offset:5184
	ds_store_b64 v133, v[137:138] offset:2592
	;; [unrolled: 3-line block ×3, first 2 shown]
	ds_store_b64 v132, v[76:77] offset:15552
	ds_store_b64 v132, v[141:142] offset:18144
	;; [unrolled: 1-line block ×3, first 2 shown]
	v_add_co_u32 v68, s2, s10, v149
	s_delay_alu instid0(VALU_DEP_1) | instskip(SKIP_1) | instid1(VALU_DEP_3)
	v_add_co_ci_u32_e64 v69, null, s11, 0, s2
	v_add_co_u32 v70, s2, s10, v150
	v_add_co_u32 v68, vcc_lo, 0x1000, v68
	s_delay_alu instid0(VALU_DEP_3)
	v_add_co_ci_u32_e32 v69, vcc_lo, 0, v69, vcc_lo
	v_add_co_ci_u32_e64 v71, null, s11, 0, s2
	s_waitcnt lgkmcnt(0)
	s_barrier
	buffer_gl0_inv
	s_clause 0x2
	global_load_b128 v[72:75], v[78:79], off offset:3632
	global_load_b128 v[64:67], v[64:65], off offset:3632
	;; [unrolled: 1-line block ×3, first 2 shown]
	v_add_co_u32 v68, vcc_lo, 0x1000, v70
	v_add_co_ci_u32_e32 v69, vcc_lo, 0, v71, vcc_lo
	s_mul_i32 s2, s4, 0xf30
	global_load_b128 v[68:71], v[68:69], off offset:3632
	ds_load_2addr_b64 v[137:140], v115 offset0:12 offset1:255
	ds_load_2addr_b64 v[141:144], v113 offset0:8 offset1:251
	ds_load_2addr_b64 v[145:148], v114 offset0:2 offset1:245
	ds_load_2addr_b64 v[149:152], v116 offset0:6 offset1:249
	ds_load_2addr_b64 v[153:156], v112 offset1:243
	s_waitcnt vmcnt(3) lgkmcnt(4)
	v_mul_f32_e32 v130, v138, v73
	v_mul_f32_e32 v131, v137, v73
	s_waitcnt vmcnt(1) lgkmcnt(1)
	v_mul_f32_e32 v163, v149, v79
	v_mul_f32_e32 v157, v140, v65
	v_dual_mul_f32 v158, v139, v65 :: v_dual_mul_f32 v159, v142, v75
	v_mul_f32_e32 v160, v141, v75
	v_mul_f32_e32 v161, v144, v67
	v_fma_f32 v130, v137, v72, -v130
	v_fmac_f32_e32 v131, v138, v72
	v_fma_f32 v137, v139, v64, -v157
	v_mul_f32_e32 v138, v146, v77
	v_dual_mul_f32 v157, v145, v77 :: v_dual_mul_f32 v162, v143, v67
	v_dual_mul_f32 v139, v150, v79 :: v_dual_fmac_f32 v158, v140, v64
	v_fma_f32 v140, v141, v74, -v159
	s_waitcnt vmcnt(0)
	v_mul_f32_e32 v159, v147, v69
	v_fma_f32 v143, v143, v66, -v161
	v_dual_mul_f32 v141, v148, v69 :: v_dual_fmac_f32 v160, v142, v74
	v_mul_f32_e32 v161, v151, v71
	s_delay_alu instid0(VALU_DEP_4)
	v_fmac_f32_e32 v159, v148, v68
	v_dual_mul_f32 v142, v152, v71 :: v_dual_fmac_f32 v163, v150, v78
	v_fma_f32 v164, v145, v76, -v138
	v_dual_fmac_f32 v157, v146, v76 :: v_dual_fmac_f32 v162, v144, v66
	v_fma_f32 v149, v149, v78, -v139
	s_waitcnt lgkmcnt(0)
	v_dual_fmac_f32 v161, v152, v70 :: v_dual_add_f32 v138, v154, v131
	v_dual_sub_f32 v152, v131, v160 :: v_dual_add_f32 v139, v153, v130
	v_fma_f32 v150, v147, v68, -v141
	v_fma_f32 v151, v151, v70, -v142
	v_add_f32_e32 v131, v131, v160
	v_add_f32_e32 v165, v130, v140
	v_dual_sub_f32 v166, v130, v140 :: v_dual_sub_f32 v169, v137, v143
	v_add_f32_e32 v130, v155, v137
	v_dual_add_f32 v144, v156, v158 :: v_dual_add_f32 v141, v139, v140
	v_dual_sub_f32 v167, v158, v162 :: v_dual_add_f32 v168, v137, v143
	v_add_f32_e32 v142, v138, v160
	ds_load_2addr_b64 v[137:140], v117 offset0:6 offset1:249
	v_dual_add_f32 v143, v130, v143 :: v_dual_add_f32 v144, v144, v162
	v_add_f32_e32 v158, v158, v162
	v_sub_f32_e32 v162, v164, v149
	v_fma_f32 v155, -0.5, v168, v155
	s_waitcnt lgkmcnt(0)
	v_dual_add_f32 v130, v138, v157 :: v_dual_add_f32 v147, v140, v159
	s_delay_alu instid0(VALU_DEP_1) | instskip(NEXT) | instid1(VALU_DEP_2)
	v_add_f32_e32 v148, v147, v161
	v_dual_add_f32 v147, v139, v150 :: v_dual_add_f32 v146, v130, v163
	v_add_f32_e32 v130, v137, v164
	v_add_f32_e32 v160, v157, v163
	v_sub_f32_e32 v157, v157, v163
	v_sub_f32_e32 v163, v159, v161
	v_add_f32_e32 v159, v159, v161
	v_add_f32_e32 v145, v130, v149
	v_dual_add_f32 v130, v164, v149 :: v_dual_add_f32 v147, v147, v151
	v_add_f32_e32 v161, v150, v151
	v_dual_sub_f32 v164, v150, v151 :: v_dual_fmamk_f32 v151, v167, 0x3f5db3d7, v155
	v_fma_f32 v149, -0.5, v165, v153
	v_fma_f32 v150, -0.5, v131, v154
	v_dual_fmac_f32 v156, -0.5, v158 :: v_dual_fmac_f32 v155, 0xbf5db3d7, v167
	v_fma_f32 v137, -0.5, v130, v137
	v_fma_f32 v138, -0.5, v160, v138
	v_fmamk_f32 v130, v152, 0x3f5db3d7, v149
	v_fmamk_f32 v131, v166, 0xbf5db3d7, v150
	v_fma_f32 v139, -0.5, v161, v139
	v_dual_fmac_f32 v140, -0.5, v159 :: v_dual_fmamk_f32 v153, v157, 0x3f5db3d7, v137
	v_fmac_f32_e32 v149, 0xbf5db3d7, v152
	v_fmac_f32_e32 v150, 0x3f5db3d7, v166
	v_dual_fmamk_f32 v152, v169, 0xbf5db3d7, v156 :: v_dual_fmac_f32 v137, 0xbf5db3d7, v157
	v_fmac_f32_e32 v156, 0x3f5db3d7, v169
	v_fmamk_f32 v154, v162, 0xbf5db3d7, v138
	v_fmac_f32_e32 v138, 0x3f5db3d7, v162
	ds_store_b64 v112, v[130:131] offset:7776
	v_add_nc_u32_e32 v130, 0x4400, v112
	v_add_nc_u32_e32 v131, 0x25c0, v112
	v_fmamk_f32 v157, v163, 0x3f5db3d7, v139
	v_dual_fmac_f32 v139, 0xbf5db3d7, v163 :: v_dual_fmamk_f32 v158, v164, 0xbf5db3d7, v140
	v_fmac_f32_e32 v140, 0x3f5db3d7, v164
	ds_store_b64 v112, v[149:150] offset:15552
	ds_store_2addr_b64 v112, v[141:142], v[143:144] offset1:243
	ds_store_2addr_b64 v130, v[155:156], v[137:138] offset0:11 offset1:254
	ds_store_2addr_b64 v131, v[151:152], v[153:154] offset0:7 offset1:250
	;; [unrolled: 1-line block ×3, first 2 shown]
	ds_store_b64 v112, v[139:140] offset:21384
	ds_store_b64 v112, v[157:158] offset:13608
	v_add_co_u32 v137, vcc_lo, 0x5b20, v118
	s_waitcnt lgkmcnt(0)
	s_barrier
	buffer_gl0_inv
	global_load_b64 v[105:106], v[105:106], off offset:2848
	v_add_co_ci_u32_e32 v138, vcc_lo, 0, v119, vcc_lo
	v_add_co_u32 v139, vcc_lo, 0x7000, v118
	v_add_co_ci_u32_e32 v140, vcc_lo, 0, v119, vcc_lo
	s_clause 0x2
	global_load_b64 v[141:142], v[137:138], off offset:1944
	global_load_b64 v[143:144], v[137:138], off offset:3888
	;; [unrolled: 1-line block ×3, first 2 shown]
	v_add_co_u32 v137, vcc_lo, 0x8000, v118
	v_add_co_ci_u32_e32 v138, vcc_lo, 0, v119, vcc_lo
	s_clause 0x1
	global_load_b64 v[147:148], v[139:140], off offset:2432
	global_load_b64 v[149:150], v[137:138], off offset:280
	v_add_co_u32 v139, vcc_lo, 0x9000, v118
	v_add_co_ci_u32_e32 v140, vcc_lo, 0, v119, vcc_lo
	s_clause 0x3
	global_load_b64 v[151:152], v[137:138], off offset:2224
	global_load_b64 v[153:154], v[139:140], off offset:72
	;; [unrolled: 1-line block ×4, first 2 shown]
	v_add_co_u32 v118, vcc_lo, 0xa000, v118
	v_add_co_ci_u32_e32 v119, vcc_lo, 0, v119, vcc_lo
	s_clause 0x1
	global_load_b64 v[159:160], v[118:119], off offset:1808
	global_load_b64 v[118:119], v[118:119], off offset:3752
	ds_load_2addr_b64 v[137:140], v112 offset1:243
	s_waitcnt vmcnt(11) lgkmcnt(0)
	v_mul_f32_e32 v161, v138, v106
	v_mul_f32_e32 v162, v137, v106
	s_delay_alu instid0(VALU_DEP_2) | instskip(SKIP_1) | instid1(VALU_DEP_2)
	v_fma_f32 v161, v137, v105, -v161
	s_waitcnt vmcnt(10)
	v_dual_fmac_f32 v162, v138, v105 :: v_dual_mul_f32 v105, v140, v142
	v_mul_f32_e32 v106, v139, v142
	ds_store_b64 v112, v[161:162]
	v_fma_f32 v105, v139, v141, -v105
	v_fmac_f32_e32 v106, v140, v141
	ds_load_2addr_b64 v[137:140], v117 offset0:6 offset1:249
	s_waitcnt vmcnt(9) lgkmcnt(0)
	v_mul_f32_e32 v141, v138, v144
	s_waitcnt vmcnt(8)
	v_dual_mul_f32 v142, v137, v144 :: v_dual_mul_f32 v161, v140, v146
	v_mul_f32_e32 v144, v139, v146
	s_delay_alu instid0(VALU_DEP_3) | instskip(NEXT) | instid1(VALU_DEP_3)
	v_fma_f32 v141, v137, v143, -v141
	v_fmac_f32_e32 v142, v138, v143
	s_delay_alu instid0(VALU_DEP_4) | instskip(NEXT) | instid1(VALU_DEP_4)
	v_fma_f32 v143, v139, v145, -v161
	v_fmac_f32_e32 v144, v140, v145
	ds_load_2addr_b64 v[137:140], v115 offset0:12 offset1:255
	s_waitcnt vmcnt(7) lgkmcnt(0)
	v_mul_f32_e32 v145, v138, v148
	s_waitcnt vmcnt(6)
	v_dual_mul_f32 v146, v137, v148 :: v_dual_mul_f32 v161, v140, v150
	v_mul_f32_e32 v148, v139, v150
	s_delay_alu instid0(VALU_DEP_3) | instskip(NEXT) | instid1(VALU_DEP_3)
	v_fma_f32 v145, v137, v147, -v145
	v_fmac_f32_e32 v146, v138, v147
	s_delay_alu instid0(VALU_DEP_4) | instskip(NEXT) | instid1(VALU_DEP_4)
	;; [unrolled: 12-line block ×4, first 2 shown]
	v_fma_f32 v155, v139, v157, -v161
	v_fmac_f32_e32 v156, v140, v157
	ds_load_2addr_b64 v[137:140], v116 offset0:6 offset1:249
	s_waitcnt vmcnt(1) lgkmcnt(0)
	v_mul_f32_e32 v158, v137, v160
	s_waitcnt vmcnt(0)
	v_dual_mul_f32 v157, v138, v160 :: v_dual_mul_f32 v160, v140, v119
	s_delay_alu instid0(VALU_DEP_2) | instskip(SKIP_1) | instid1(VALU_DEP_3)
	v_fmac_f32_e32 v158, v138, v159
	v_dual_mul_f32 v138, v139, v119 :: v_dual_add_nc_u32 v119, 0x780, v112
	v_fma_f32 v157, v137, v159, -v157
	s_delay_alu instid0(VALU_DEP_4) | instskip(NEXT) | instid1(VALU_DEP_3)
	v_fma_f32 v137, v139, v118, -v160
	v_dual_fmac_f32 v138, v140, v118 :: v_dual_add_nc_u32 v139, 0x1680, v112
	v_add_nc_u32_e32 v118, 0x3500, v112
	ds_store_2addr_b64 v119, v[105:106], v[141:142] offset0:3 offset1:246
	ds_store_2addr_b64 v139, v[143:144], v[145:146] offset0:9 offset1:252
	;; [unrolled: 1-line block ×5, first 2 shown]
	ds_store_b64 v112, v[137:138] offset:21384
	s_waitcnt lgkmcnt(0)
	s_barrier
	buffer_gl0_inv
	ds_load_2addr_b64 v[137:140], v112 offset1:243
	ds_load_2addr_b64 v[141:144], v115 offset0:12 offset1:255
	ds_load_2addr_b64 v[145:148], v113 offset0:8 offset1:251
	;; [unrolled: 1-line block ×3, first 2 shown]
	s_waitcnt lgkmcnt(2)
	v_add_f32_e32 v105, v137, v141
	v_dual_add_f32 v155, v139, v143 :: v_dual_add_f32 v106, v138, v142
	s_waitcnt lgkmcnt(1)
	v_dual_add_f32 v118, v141, v145 :: v_dual_add_f32 v119, v142, v146
	v_sub_f32_e32 v153, v142, v146
	v_add_f32_e32 v161, v143, v147
	v_dual_add_f32 v163, v144, v148 :: v_dual_sub_f32 v164, v143, v147
	v_dual_add_f32 v105, v105, v145 :: v_dual_add_f32 v156, v140, v144
	v_dual_add_f32 v155, v155, v147 :: v_dual_sub_f32 v154, v141, v145
	v_sub_f32_e32 v162, v144, v148
	ds_load_2addr_b64 v[141:144], v116 offset0:6 offset1:249
	v_add_f32_e32 v156, v156, v148
	v_fmac_f32_e32 v140, -0.5, v163
	s_waitcnt lgkmcnt(0)
	v_sub_f32_e32 v160, v150, v142
	v_add_f32_e32 v106, v106, v146
	ds_load_2addr_b64 v[145:148], v117 offset0:6 offset1:249
	v_dual_add_f32 v168, v152, v144 :: v_dual_add_f32 v157, v149, v141
	v_dual_sub_f32 v159, v149, v141 :: v_dual_add_f32 v158, v150, v142
	v_add_f32_e32 v166, v151, v143
	s_waitcnt lgkmcnt(0)
	s_barrier
	buffer_gl0_inv
	v_dual_add_f32 v149, v145, v149 :: v_dual_add_f32 v150, v146, v150
	v_add_f32_e32 v165, v147, v151
	v_add_f32_e32 v167, v148, v152
	v_dual_sub_f32 v151, v151, v143 :: v_dual_fmac_f32 v148, -0.5, v168
	s_delay_alu instid0(VALU_DEP_4) | instskip(NEXT) | instid1(VALU_DEP_4)
	v_dual_add_f32 v149, v149, v141 :: v_dual_add_f32 v150, v150, v142
	v_add_f32_e32 v143, v165, v143
	v_fma_f32 v146, -0.5, v158, v146
	s_delay_alu instid0(VALU_DEP_4) | instskip(SKIP_4) | instid1(VALU_DEP_4)
	v_fmamk_f32 v165, v151, 0x3f5db3d7, v148
	v_fmac_f32_e32 v148, 0xbf5db3d7, v151
	v_sub_f32_e32 v152, v152, v144
	v_fma_f32 v151, -0.5, v157, v145
	v_fma_f32 v166, -0.5, v166, v147
	v_dual_add_f32 v141, v105, v149 :: v_dual_mul_f32 v168, -0.5, v148
	v_dual_add_f32 v142, v106, v150 :: v_dual_sub_f32 v147, v105, v149
	v_fmamk_f32 v105, v159, 0x3f5db3d7, v146
	v_fmac_f32_e32 v146, 0xbf5db3d7, v159
	v_add_f32_e32 v144, v167, v144
	v_dual_mul_f32 v167, 0xbf5db3d7, v148 :: v_dual_sub_f32 v148, v106, v150
	v_fma_f32 v106, -0.5, v118, v137
	v_fmamk_f32 v137, v160, 0xbf5db3d7, v151
	v_fmac_f32_e32 v151, 0x3f5db3d7, v160
	v_add_f32_e32 v149, v155, v143
	s_delay_alu instid0(VALU_DEP_4)
	v_dual_sub_f32 v155, v155, v143 :: v_dual_fmamk_f32 v118, v153, 0xbf5db3d7, v106
	v_fmac_f32_e32 v106, 0x3f5db3d7, v153
	v_dual_mul_f32 v153, 0xbf5db3d7, v146 :: v_dual_add_f32 v150, v156, v144
	v_sub_f32_e32 v156, v156, v144
	v_mul_f32_e32 v144, 0xbf5db3d7, v105
	v_mul_f32_e32 v105, 0.5, v105
	s_delay_alu instid0(VALU_DEP_2) | instskip(NEXT) | instid1(VALU_DEP_2)
	v_dual_fmac_f32 v153, -0.5, v151 :: v_dual_fmac_f32 v144, 0.5, v137
	v_fmac_f32_e32 v105, 0x3f5db3d7, v137
	s_delay_alu instid0(VALU_DEP_2)
	v_add_f32_e32 v145, v106, v153
	v_sub_f32_e32 v159, v106, v153
	v_fma_f32 v106, -0.5, v119, v138
	v_add_f32_e32 v143, v118, v144
	v_sub_f32_e32 v157, v118, v144
	v_mul_f32_e32 v137, 0xbf5db3d7, v165
	v_mul_f32_e32 v138, 0.5, v165
	v_fmamk_f32 v118, v154, 0x3f5db3d7, v106
	v_fmac_f32_e32 v106, 0xbf5db3d7, v154
	v_fmamk_f32 v119, v164, 0x3f5db3d7, v140
	v_fmac_f32_e32 v140, 0xbf5db3d7, v164
	s_delay_alu instid0(VALU_DEP_4) | instskip(SKIP_1) | instid1(VALU_DEP_1)
	v_add_f32_e32 v144, v118, v105
	v_dual_sub_f32 v158, v118, v105 :: v_dual_mul_f32 v105, -0.5, v146
	v_fmac_f32_e32 v105, 0x3f5db3d7, v151
	s_delay_alu instid0(VALU_DEP_1) | instskip(SKIP_2) | instid1(VALU_DEP_2)
	v_add_f32_e32 v146, v106, v105
	v_dual_sub_f32 v160, v106, v105 :: v_dual_fmamk_f32 v105, v152, 0xbf5db3d7, v166
	v_fma_f32 v106, -0.5, v161, v139
	v_dual_fmac_f32 v166, 0x3f5db3d7, v152 :: v_dual_fmac_f32 v137, 0.5, v105
	s_delay_alu instid0(VALU_DEP_2) | instskip(SKIP_2) | instid1(VALU_DEP_4)
	v_fmamk_f32 v118, v162, 0xbf5db3d7, v106
	v_fmac_f32_e32 v138, 0x3f5db3d7, v105
	v_fmac_f32_e32 v106, 0x3f5db3d7, v162
	;; [unrolled: 1-line block ×3, first 2 shown]
	v_fmac_f32_e32 v167, -0.5, v166
	s_delay_alu instid0(VALU_DEP_4) | instskip(NEXT) | instid1(VALU_DEP_3)
	v_dual_add_f32 v151, v118, v137 :: v_dual_add_f32 v152, v119, v138
	v_dual_sub_f32 v137, v118, v137 :: v_dual_add_f32 v154, v140, v168
	s_delay_alu instid0(VALU_DEP_3)
	v_dual_sub_f32 v140, v140, v168 :: v_dual_add_f32 v153, v106, v167
	v_dual_sub_f32 v139, v106, v167 :: v_dual_sub_f32 v138, v119, v138
	ds_store_b128 v136, v[141:144]
	ds_store_b128 v136, v[145:148] offset:16
	ds_store_b128 v136, v[157:160] offset:32
	ds_store_b128 v135, v[149:152]
	ds_store_b128 v135, v[153:156] offset:16
	ds_store_b128 v135, v[137:140] offset:32
	s_waitcnt lgkmcnt(0)
	s_barrier
	buffer_gl0_inv
	ds_load_2addr_b64 v[135:138], v117 offset0:6 offset1:249
	ds_load_2addr_b64 v[139:142], v115 offset0:12 offset1:255
	;; [unrolled: 1-line block ×5, first 2 shown]
	ds_load_2addr_b64 v[155:158], v112 offset1:243
	s_waitcnt lgkmcnt(0)
	s_barrier
	buffer_gl0_inv
	v_mul_f32_e32 v105, v61, v136
	v_dual_mul_f32 v61, v61, v135 :: v_dual_mul_f32 v106, v63, v140
	v_mul_f32_e32 v63, v63, v139
	v_mul_f32_e32 v119, v59, v142
	;; [unrolled: 1-line block ×3, first 2 shown]
	v_fmac_f32_e32 v105, v60, v135
	v_fma_f32 v60, v60, v136, -v61
	v_fma_f32 v61, v62, v140, -v63
	v_dual_mul_f32 v63, v51, v148 :: v_dual_fmac_f32 v106, v62, v139
	v_mul_f32_e32 v135, v55, v150
	v_fmac_f32_e32 v119, v58, v141
	v_fma_f32 v58, v58, v142, -v59
	v_dual_mul_f32 v59, v108, v152 :: v_dual_mul_f32 v118, v57, v138
	v_mul_f32_e32 v57, v57, v137
	v_dual_fmac_f32 v63, v50, v147 :: v_dual_mul_f32 v62, v49, v144
	v_mul_f32_e32 v49, v49, v143
	v_fmac_f32_e32 v135, v54, v149
	v_fmac_f32_e32 v59, v107, v151
	v_mul_f32_e32 v51, v51, v147
	v_fmac_f32_e32 v62, v48, v143
	v_fmac_f32_e32 v118, v56, v137
	v_fma_f32 v56, v56, v138, -v57
	v_mul_f32_e32 v57, v53, v146
	v_fma_f32 v48, v48, v144, -v49
	v_dual_mul_f32 v136, v110, v154 :: v_dual_mul_f32 v53, v53, v145
	v_fma_f32 v49, v50, v148, -v51
	s_delay_alu instid0(VALU_DEP_4) | instskip(NEXT) | instid1(VALU_DEP_3)
	v_fmac_f32_e32 v57, v52, v145
	v_dual_sub_f32 v145, v119, v135 :: v_dual_fmac_f32 v136, v109, v153
	v_mul_f32_e32 v108, v108, v151
	v_fma_f32 v50, v52, v146, -v53
	v_mul_f32_e32 v55, v55, v149
	s_delay_alu instid0(VALU_DEP_4) | instskip(NEXT) | instid1(VALU_DEP_4)
	v_dual_add_f32 v146, v119, v135 :: v_dual_add_f32 v141, v57, v136
	v_fma_f32 v52, v107, v152, -v108
	v_mul_f32_e32 v110, v110, v153
	s_delay_alu instid0(VALU_DEP_4)
	v_fma_f32 v51, v54, v150, -v55
	v_add_f32_e32 v107, v156, v61
	v_add_f32_e32 v144, v56, v50
	v_sub_f32_e32 v139, v48, v52
	v_fma_f32 v53, v109, v154, -v110
	v_dual_add_f32 v110, v60, v48 :: v_dual_add_f32 v119, v157, v119
	v_add_f32_e32 v109, v48, v52
	s_delay_alu instid0(VALU_DEP_3)
	v_add_f32_e32 v143, v50, v53
	v_add_f32_e32 v138, v62, v59
	;; [unrolled: 1-line block ×3, first 2 shown]
	v_dual_sub_f32 v61, v61, v49 :: v_dual_add_f32 v54, v155, v106
	v_add_f32_e32 v55, v106, v63
	v_dual_sub_f32 v106, v106, v63 :: v_dual_add_f32 v137, v105, v62
	v_dual_add_f32 v142, v118, v57 :: v_dual_sub_f32 v57, v57, v136
	s_delay_alu instid0(VALU_DEP_4)
	v_dual_add_f32 v54, v54, v63 :: v_dual_add_f32 v63, v107, v49
	v_add_f32_e32 v52, v110, v52
	v_add_f32_e32 v48, v58, v51
	v_add_f32_e32 v140, v158, v58
	v_sub_f32_e32 v58, v58, v51
	v_fma_f32 v107, -0.5, v55, v155
	v_add_f32_e32 v49, v63, v52
	v_fmac_f32_e32 v158, -0.5, v48
	v_dual_fmac_f32 v118, -0.5, v141 :: v_dual_add_f32 v55, v119, v135
	s_delay_alu instid0(VALU_DEP_2)
	v_dual_add_f32 v110, v142, v136 :: v_dual_fmamk_f32 v141, v145, 0x3f5db3d7, v158
	v_add_f32_e32 v119, v144, v53
	v_dual_fmac_f32 v105, -0.5, v138 :: v_dual_sub_f32 v62, v62, v59
	v_dual_add_f32 v59, v137, v59 :: v_dual_sub_f32 v50, v50, v53
	v_dual_add_f32 v135, v140, v51 :: v_dual_fmac_f32 v60, -0.5, v109
	v_dual_sub_f32 v51, v63, v52 :: v_dual_fmac_f32 v56, -0.5, v143
	s_delay_alu instid0(VALU_DEP_4) | instskip(NEXT) | instid1(VALU_DEP_3)
	v_fmamk_f32 v137, v139, 0xbf5db3d7, v105
	v_add_f32_e32 v53, v135, v119
	v_fma_f32 v108, -0.5, v108, v156
	s_delay_alu instid0(VALU_DEP_4)
	v_dual_fmac_f32 v105, 0x3f5db3d7, v139 :: v_dual_fmamk_f32 v142, v57, 0x3f5db3d7, v56
	v_fmac_f32_e32 v56, 0xbf5db3d7, v57
	v_fmamk_f32 v136, v62, 0x3f5db3d7, v60
	v_dual_fmamk_f32 v138, v61, 0xbf5db3d7, v107 :: v_dual_fmamk_f32 v57, v50, 0xbf5db3d7, v118
	v_fma_f32 v109, -0.5, v146, v157
	v_dual_fmac_f32 v118, 0x3f5db3d7, v50 :: v_dual_fmac_f32 v107, 0x3f5db3d7, v61
	v_dual_mul_f32 v61, -0.5, v56 :: v_dual_add_f32 v48, v54, v59
	v_dual_mul_f32 v63, 0.5, v136 :: v_dual_fmamk_f32 v140, v106, 0x3f5db3d7, v108
	s_delay_alu instid0(VALU_DEP_2)
	v_dual_sub_f32 v50, v54, v59 :: v_dual_fmac_f32 v61, 0x3f5db3d7, v118
	v_mul_f32_e32 v139, 0.5, v142
	v_add_f32_e32 v52, v55, v110
	v_sub_f32_e32 v54, v55, v110
	v_sub_f32_e32 v55, v135, v119
	v_fmamk_f32 v119, v58, 0xbf5db3d7, v109
	v_fmac_f32_e32 v109, 0x3f5db3d7, v58
	v_mul_f32_e32 v58, 0xbf5db3d7, v136
	v_mul_f32_e32 v136, 0xbf5db3d7, v142
	v_fmac_f32_e32 v63, 0x3f5db3d7, v137
	v_fmac_f32_e32 v60, 0xbf5db3d7, v62
	;; [unrolled: 1-line block ×3, first 2 shown]
	s_delay_alu instid0(VALU_DEP_3) | instskip(NEXT) | instid1(VALU_DEP_3)
	v_dual_fmac_f32 v136, 0.5, v57 :: v_dual_add_f32 v57, v140, v63
	v_dual_sub_f32 v63, v140, v63 :: v_dual_mul_f32 v110, 0xbf5db3d7, v60
	v_mul_f32_e32 v60, -0.5, v60
	v_dual_mul_f32 v135, 0xbf5db3d7, v56 :: v_dual_fmac_f32 v108, 0xbf5db3d7, v106
	v_fmac_f32_e32 v158, 0xbf5db3d7, v145
	s_delay_alu instid0(VALU_DEP_4) | instskip(NEXT) | instid1(VALU_DEP_3)
	v_fmac_f32_e32 v110, -0.5, v105
	v_dual_fmac_f32 v60, 0x3f5db3d7, v105 :: v_dual_fmac_f32 v135, -0.5, v118
	s_delay_alu instid0(VALU_DEP_3) | instskip(NEXT) | instid1(VALU_DEP_3)
	v_dual_sub_f32 v118, v119, v136 :: v_dual_add_f32 v59, v158, v61
	v_add_f32_e32 v105, v107, v110
	v_dual_sub_f32 v107, v107, v110 :: v_dual_fmac_f32 v58, 0.5, v137
	s_delay_alu instid0(VALU_DEP_4)
	v_add_f32_e32 v106, v108, v60
	v_sub_f32_e32 v108, v108, v60
	v_sub_f32_e32 v60, v109, v135
	v_add_f32_e32 v110, v141, v139
	v_add_f32_e32 v56, v138, v58
	v_sub_f32_e32 v62, v138, v58
	v_dual_add_f32 v58, v109, v135 :: v_dual_add_f32 v109, v119, v136
	v_sub_f32_e32 v61, v158, v61
	v_sub_f32_e32 v119, v141, v139
	ds_store_2addr_b64 v128, v[48:49], v[56:57] offset1:6
	ds_store_2addr_b64 v128, v[105:106], v[50:51] offset0:12 offset1:18
	ds_store_2addr_b64 v128, v[62:63], v[107:108] offset0:24 offset1:30
	ds_store_2addr_b64 v129, v[52:53], v[109:110] offset1:6
	ds_store_2addr_b64 v129, v[58:59], v[54:55] offset0:12 offset1:18
	ds_store_2addr_b64 v129, v[118:119], v[60:61] offset0:24 offset1:30
	s_waitcnt lgkmcnt(0)
	s_barrier
	buffer_gl0_inv
	ds_load_2addr_b64 v[48:51], v115 offset0:12 offset1:255
	ds_load_2addr_b64 v[52:55], v113 offset0:8 offset1:251
	;; [unrolled: 1-line block ×4, first 2 shown]
	ds_load_2addr_b64 v[105:108], v112 offset1:243
	ds_load_2addr_b64 v[135:138], v117 offset0:6 offset1:249
	s_waitcnt lgkmcnt(0)
	s_barrier
	buffer_gl0_inv
	v_mul_f32_e32 v109, v45, v49
	v_mul_f32_e32 v45, v45, v48
	;; [unrolled: 1-line block ×9, first 2 shown]
	v_dual_fmac_f32 v129, v38, v60 :: v_dual_mul_f32 v118, v41, v51
	v_mul_f32_e32 v41, v41, v50
	v_mul_f32_e32 v33, v33, v58
	s_delay_alu instid0(VALU_DEP_4)
	v_fmac_f32_e32 v139, v32, v58
	v_dual_fmac_f32 v109, v44, v48 :: v_dual_mul_f32 v140, v35, v63
	v_mul_f32_e32 v35, v35, v62
	v_fma_f32 v44, v44, v49, -v45
	v_mul_f32_e32 v128, v37, v57
	v_mul_f32_e32 v37, v37, v56
	v_fma_f32 v45, v46, v53, -v47
	v_fmac_f32_e32 v110, v46, v52
	v_fmac_f32_e32 v119, v42, v54
	v_fma_f32 v32, v32, v59, -v33
	v_dual_add_f32 v33, v105, v109 :: v_dual_fmac_f32 v140, v34, v62
	v_fmac_f32_e32 v118, v40, v50
	v_fma_f32 v40, v40, v51, -v41
	v_fma_f32 v41, v42, v55, -v43
	;; [unrolled: 1-line block ×3, first 2 shown]
	v_add_f32_e32 v35, v106, v44
	v_fmac_f32_e32 v128, v36, v56
	v_fma_f32 v36, v36, v57, -v37
	v_fma_f32 v39, v38, v61, -v39
	v_add_f32_e32 v37, v44, v45
	v_sub_f32_e32 v47, v109, v110
	v_add_f32_e32 v51, v128, v129
	v_dual_add_f32 v57, v139, v140 :: v_dual_add_f32 v34, v109, v110
	v_sub_f32_e32 v49, v118, v119
	v_dual_add_f32 v42, v118, v119 :: v_dual_sub_f32 v55, v128, v129
	v_dual_sub_f32 v46, v44, v45 :: v_dual_add_f32 v59, v138, v32
	v_dual_add_f32 v38, v107, v118 :: v_dual_add_f32 v53, v136, v36
	v_dual_sub_f32 v48, v40, v41 :: v_dual_sub_f32 v61, v139, v140
	v_add_f32_e32 v44, v108, v40
	v_add_f32_e32 v40, v40, v41
	v_fma_f32 v34, -0.5, v34, v105
	v_fma_f32 v107, -0.5, v42, v107
	v_add_f32_e32 v54, v36, v39
	v_sub_f32_e32 v58, v32, v43
	v_add_f32_e32 v60, v32, v43
	v_dual_add_f32 v32, v33, v110 :: v_dual_add_f32 v43, v59, v43
	v_add_f32_e32 v33, v35, v45
	v_add_f32_e32 v50, v135, v128
	v_fma_f32 v35, -0.5, v37, v106
	v_add_f32_e32 v37, v44, v41
	v_sub_f32_e32 v52, v36, v39
	v_dual_add_f32 v39, v53, v39 :: v_dual_fmac_f32 v108, -0.5, v40
	v_fmamk_f32 v44, v46, 0xbf5db3d7, v34
	v_fmac_f32_e32 v34, 0x3f5db3d7, v46
	v_fmamk_f32 v46, v48, 0xbf5db3d7, v107
	v_fmac_f32_e32 v107, 0x3f5db3d7, v48
	v_fma_f32 v41, -0.5, v54, v136
	v_add_f32_e32 v56, v137, v139
	v_fma_f32 v137, -0.5, v57, v137
	v_add_f32_e32 v36, v38, v119
	v_add_f32_e32 v38, v50, v129
	v_fma_f32 v40, -0.5, v51, v135
	v_fmamk_f32 v45, v47, 0x3f5db3d7, v35
	v_fmac_f32_e32 v35, 0xbf5db3d7, v47
	v_fmamk_f32 v47, v49, 0x3f5db3d7, v108
	v_fmamk_f32 v50, v58, 0xbf5db3d7, v137
	v_dual_fmac_f32 v137, 0x3f5db3d7, v58 :: v_dual_fmac_f32 v138, -0.5, v60
	v_fmac_f32_e32 v108, 0xbf5db3d7, v49
	v_fmamk_f32 v48, v52, 0xbf5db3d7, v40
	v_dual_fmac_f32 v40, 0x3f5db3d7, v52 :: v_dual_fmamk_f32 v49, v55, 0x3f5db3d7, v41
	v_dual_add_f32 v42, v56, v140 :: v_dual_fmac_f32 v41, 0xbf5db3d7, v55
	v_fmamk_f32 v51, v61, 0x3f5db3d7, v138
	v_fmac_f32_e32 v138, 0xbf5db3d7, v61
	ds_store_2addr_b64 v121, v[32:33], v[44:45] offset1:36
	ds_store_b64 v121, v[34:35] offset:576
	ds_store_2addr_b64 v123, v[36:37], v[46:47] offset1:36
	ds_store_b64 v123, v[107:108] offset:576
	;; [unrolled: 2-line block ×4, first 2 shown]
	s_waitcnt lgkmcnt(0)
	s_barrier
	buffer_gl0_inv
	ds_load_2addr_b64 v[32:35], v115 offset0:12 offset1:255
	ds_load_2addr_b64 v[36:39], v113 offset0:8 offset1:251
	;; [unrolled: 1-line block ×4, first 2 shown]
	ds_load_2addr_b64 v[48:51], v112 offset1:243
	ds_load_2addr_b64 v[52:55], v117 offset0:6 offset1:249
	s_waitcnt lgkmcnt(0)
	s_barrier
	buffer_gl0_inv
	v_mul_f32_e32 v56, v13, v33
	v_mul_f32_e32 v13, v13, v32
	;; [unrolled: 1-line block ×4, first 2 shown]
	v_dual_mul_f32 v15, v15, v36 :: v_dual_mul_f32 v58, v9, v35
	v_mul_f32_e32 v3, v3, v46
	v_mul_f32_e32 v9, v9, v34
	;; [unrolled: 1-line block ×3, first 2 shown]
	v_dual_mul_f32 v11, v11, v38 :: v_dual_mul_f32 v60, v5, v41
	v_fmac_f32_e32 v57, v14, v36
	v_mul_f32_e32 v5, v5, v40
	v_mul_f32_e32 v61, v7, v45
	v_dual_mul_f32 v7, v7, v44 :: v_dual_mul_f32 v62, v1, v43
	v_fmac_f32_e32 v59, v10, v38
	v_dual_mul_f32 v1, v1, v42 :: v_dual_fmac_f32 v56, v12, v32
	v_fmac_f32_e32 v63, v2, v46
	v_fma_f32 v12, v12, v33, -v13
	v_fma_f32 v13, v14, v37, -v15
	v_dual_fmac_f32 v58, v8, v34 :: v_dual_fmac_f32 v61, v6, v44
	v_fma_f32 v8, v8, v35, -v9
	v_fma_f32 v9, v10, v39, -v11
	s_delay_alu instid0(VALU_DEP_3)
	v_dual_fmac_f32 v60, v4, v40 :: v_dual_sub_f32 v33, v58, v59
	v_fma_f32 v4, v4, v41, -v5
	v_fma_f32 v7, v6, v45, -v7
	v_fmac_f32_e32 v62, v0, v42
	v_fma_f32 v0, v0, v43, -v1
	v_fma_f32 v11, v2, v47, -v3
	v_add_f32_e32 v3, v49, v12
	v_dual_add_f32 v1, v48, v56 :: v_dual_add_f32 v6, v50, v58
	v_dual_sub_f32 v14, v12, v13 :: v_dual_add_f32 v41, v62, v63
	v_dual_add_f32 v5, v12, v13 :: v_dual_add_f32 v10, v58, v59
	v_dual_sub_f32 v15, v56, v57 :: v_dual_add_f32 v12, v51, v8
	v_dual_sub_f32 v32, v8, v9 :: v_dual_add_f32 v43, v55, v0
	v_dual_add_f32 v8, v8, v9 :: v_dual_sub_f32 v45, v62, v63
	v_add_f32_e32 v34, v52, v60
	v_sub_f32_e32 v36, v4, v7
	s_delay_alu instid0(VALU_DEP_3)
	v_dual_sub_f32 v42, v0, v11 :: v_dual_fmac_f32 v51, -0.5, v8
	v_add_f32_e32 v44, v0, v11
	v_dual_add_f32 v0, v1, v57 :: v_dual_add_f32 v11, v43, v11
	v_add_f32_e32 v1, v3, v13
	v_fma_f32 v3, -0.5, v5, v49
	v_dual_add_f32 v2, v56, v57 :: v_dual_add_f32 v37, v53, v4
	v_dual_add_f32 v35, v60, v61 :: v_dual_add_f32 v40, v54, v62
	v_fma_f32 v50, -0.5, v10, v50
	s_delay_alu instid0(VALU_DEP_4)
	v_fmamk_f32 v13, v15, 0x3f5db3d7, v3
	v_fmac_f32_e32 v3, 0xbf5db3d7, v15
	v_dual_fmamk_f32 v15, v33, 0x3f5db3d7, v51 :: v_dual_add_f32 v38, v4, v7
	v_fmac_f32_e32 v55, -0.5, v44
	v_fma_f32 v2, -0.5, v2, v48
	v_dual_sub_f32 v39, v60, v61 :: v_dual_add_f32 v4, v6, v59
	v_add_f32_e32 v5, v12, v9
	v_fma_f32 v8, -0.5, v35, v52
	s_delay_alu instid0(VALU_DEP_4)
	v_fmamk_f32 v12, v14, 0xbf5db3d7, v2
	v_fma_f32 v9, -0.5, v38, v53
	v_fma_f32 v54, -0.5, v41, v54
	v_fmac_f32_e32 v2, 0x3f5db3d7, v14
	v_fmamk_f32 v14, v32, 0xbf5db3d7, v50
	v_dual_add_f32 v10, v40, v63 :: v_dual_fmac_f32 v51, 0xbf5db3d7, v33
	v_dual_fmac_f32 v50, 0x3f5db3d7, v32 :: v_dual_fmamk_f32 v35, v45, 0x3f5db3d7, v55
	v_dual_add_f32 v6, v34, v61 :: v_dual_add_f32 v7, v37, v7
	v_fmamk_f32 v32, v36, 0xbf5db3d7, v8
	v_dual_fmac_f32 v8, 0x3f5db3d7, v36 :: v_dual_fmamk_f32 v33, v39, 0x3f5db3d7, v9
	v_dual_fmac_f32 v9, 0xbf5db3d7, v39 :: v_dual_fmamk_f32 v34, v42, 0xbf5db3d7, v54
	v_fmac_f32_e32 v55, 0xbf5db3d7, v45
	v_fmac_f32_e32 v54, 0x3f5db3d7, v42
	ds_store_2addr_b64 v125, v[0:1], v[12:13] offset1:108
	ds_store_b64 v125, v[2:3] offset:1728
	ds_store_2addr_b64 v127, v[4:5], v[14:15] offset1:108
	ds_store_b64 v127, v[50:51] offset:1728
	;; [unrolled: 2-line block ×4, first 2 shown]
	s_waitcnt lgkmcnt(0)
	s_barrier
	buffer_gl0_inv
	ds_load_2addr_b64 v[2:5], v115 offset0:12 offset1:255
	ds_load_2addr_b64 v[6:9], v113 offset0:8 offset1:251
	;; [unrolled: 1-line block ×4, first 2 shown]
	ds_load_2addr_b64 v[36:39], v112 offset1:243
	ds_load_2addr_b64 v[40:43], v117 offset0:6 offset1:249
	s_waitcnt lgkmcnt(0)
	s_barrier
	buffer_gl0_inv
	v_mad_u64_u32 v[0:1], null, s6, v100, 0
	s_mul_hi_u32 s6, s4, 0xf30
	v_mul_f32_e32 v14, v29, v3
	v_mul_f32_e32 v15, v29, v2
	;; [unrolled: 1-line block ×3, first 2 shown]
	v_dual_mul_f32 v31, v31, v6 :: v_dual_mul_f32 v44, v21, v5
	s_delay_alu instid0(VALU_DEP_4) | instskip(SKIP_2) | instid1(VALU_DEP_4)
	v_dual_mul_f32 v21, v21, v4 :: v_dual_fmac_f32 v14, v28, v2
	v_dual_mul_f32 v45, v23, v9 :: v_dual_mul_f32 v46, v17, v11
	v_mul_f32_e32 v23, v23, v8
	v_dual_mul_f32 v17, v17, v10 :: v_dual_fmac_f32 v44, v20, v4
	s_delay_alu instid0(VALU_DEP_3)
	v_dual_mul_f32 v47, v19, v33 :: v_dual_fmac_f32 v46, v16, v10
	v_dual_mul_f32 v19, v19, v32 :: v_dual_mul_f32 v48, v25, v13
	v_fma_f32 v2, v28, v3, -v15
	v_fma_f32 v3, v30, v7, -v31
	;; [unrolled: 1-line block ×4, first 2 shown]
	v_mul_f32_e32 v25, v25, v12
	v_dual_mul_f32 v49, v27, v35 :: v_dual_fmac_f32 v48, v24, v12
	v_fmac_f32_e32 v29, v30, v6
	v_fmac_f32_e32 v47, v18, v32
	v_fma_f32 v9, v18, v33, -v19
	v_dual_sub_f32 v18, v4, v7 :: v_dual_mul_f32 v27, v27, v34
	s_delay_alu instid0(VALU_DEP_4)
	v_add_f32_e32 v10, v14, v29
	v_dual_fmac_f32 v45, v22, v8 :: v_dual_add_f32 v20, v4, v7
	v_fma_f32 v5, v16, v11, -v17
	v_fmac_f32_e32 v49, v26, v34
	v_add_f32_e32 v8, v36, v14
	v_fma_f32 v6, v24, v13, -v25
	v_fma_f32 v13, v26, v35, -v27
	v_sub_f32_e32 v24, v5, v9
	v_dual_add_f32 v11, v37, v2 :: v_dual_add_f32 v12, v2, v3
	v_dual_sub_f32 v16, v14, v29 :: v_dual_add_f32 v19, v39, v4
	v_dual_add_f32 v14, v38, v44 :: v_dual_add_f32 v17, v44, v45
	v_dual_sub_f32 v15, v2, v3 :: v_dual_add_f32 v26, v5, v9
	v_dual_add_f32 v22, v40, v46 :: v_dual_add_f32 v23, v46, v47
	v_add_f32_e32 v30, v48, v49
	v_fma_f32 v4, -0.5, v10, v36
	v_add_f32_e32 v33, v6, v13
	v_dual_add_f32 v25, v41, v5 :: v_dual_add_f32 v32, v43, v6
	v_fma_f32 v5, -0.5, v12, v37
	v_dual_sub_f32 v21, v44, v45 :: v_dual_add_f32 v28, v42, v48
	v_fma_f32 v38, -0.5, v17, v38
	v_fmac_f32_e32 v39, -0.5, v20
	v_dual_sub_f32 v27, v46, v47 :: v_dual_sub_f32 v34, v48, v49
	v_sub_f32_e32 v31, v6, v13
	v_dual_add_f32 v2, v8, v29 :: v_dual_add_f32 v3, v11, v3
	v_dual_add_f32 v6, v14, v45 :: v_dual_add_f32 v7, v19, v7
	v_fma_f32 v10, -0.5, v23, v40
	v_fma_f32 v11, -0.5, v26, v41
	;; [unrolled: 1-line block ×3, first 2 shown]
	v_fmamk_f32 v14, v15, 0xbf5db3d7, v4
	v_dual_fmac_f32 v4, 0x3f5db3d7, v15 :: v_dual_fmac_f32 v43, -0.5, v33
	v_fmamk_f32 v15, v16, 0x3f5db3d7, v5
	v_dual_add_f32 v12, v28, v49 :: v_dual_fmac_f32 v5, 0xbf5db3d7, v16
	v_dual_add_f32 v8, v22, v47 :: v_dual_add_f32 v9, v25, v9
	v_fmamk_f32 v16, v18, 0xbf5db3d7, v38
	v_fmamk_f32 v17, v21, 0x3f5db3d7, v39
	v_dual_add_f32 v13, v32, v13 :: v_dual_fmac_f32 v38, 0x3f5db3d7, v18
	v_dual_fmac_f32 v39, 0xbf5db3d7, v21 :: v_dual_fmamk_f32 v20, v31, 0xbf5db3d7, v42
	v_fmamk_f32 v18, v24, 0xbf5db3d7, v10
	v_dual_fmac_f32 v10, 0x3f5db3d7, v24 :: v_dual_fmamk_f32 v19, v27, 0x3f5db3d7, v11
	v_fmac_f32_e32 v11, 0xbf5db3d7, v27
	v_dual_fmac_f32 v42, 0x3f5db3d7, v31 :: v_dual_fmamk_f32 v21, v34, 0x3f5db3d7, v43
	v_fmac_f32_e32 v43, 0xbf5db3d7, v34
	ds_store_b64 v112, v[2:3]
	ds_store_b64 v112, v[14:15] offset:2592
	ds_store_b64 v112, v[4:5] offset:5184
	ds_store_b64 v133, v[6:7]
	ds_store_b64 v133, v[16:17] offset:2592
	ds_store_b64 v133, v[38:39] offset:5184
	ds_store_b64 v134, v[8:9]
	ds_store_b64 v134, v[18:19] offset:2592
	ds_store_b64 v134, v[10:11] offset:5184
	ds_store_b64 v132, v[12:13] offset:15552
	ds_store_b64 v132, v[20:21] offset:18144
	;; [unrolled: 1-line block ×3, first 2 shown]
	s_waitcnt lgkmcnt(0)
	s_barrier
	buffer_gl0_inv
	ds_load_2addr_b64 v[2:5], v115 offset0:12 offset1:255
	ds_load_2addr_b64 v[6:9], v113 offset0:8 offset1:251
	;; [unrolled: 1-line block ×3, first 2 shown]
	v_mad_u64_u32 v[26:27], null, s4, v111, 0
	ds_load_2addr_b64 v[14:17], v116 offset0:6 offset1:249
	s_waitcnt lgkmcnt(3)
	v_mad_u64_u32 v[18:19], null, s7, v100, v[1:2]
	s_waitcnt lgkmcnt(2)
	v_mul_f32_e32 v34, v67, v9
	s_waitcnt lgkmcnt(1)
	v_dual_mov_b32 v1, v27 :: v_dual_mul_f32 v36, v77, v11
	s_waitcnt lgkmcnt(0)
	v_dual_mul_f32 v29, v73, v2 :: v_dual_mul_f32 v42, v71, v17
	v_mul_f32_e32 v30, v75, v7
	s_delay_alu instid0(VALU_DEP_3)
	v_mad_u64_u32 v[27:28], null, s5, v111, v[1:2]
	v_dual_mov_b32 v1, v18 :: v_dual_mul_f32 v38, v79, v15
	ds_load_2addr_b64 v[18:21], v112 offset1:243
	ds_load_2addr_b64 v[22:25], v117 offset0:6 offset1:249
	v_dual_mul_f32 v28, v73, v3 :: v_dual_mul_f32 v31, v75, v6
	v_mul_f32_e32 v40, v69, v13
	v_mul_f32_e32 v32, v65, v5
	s_delay_alu instid0(VALU_DEP_3) | instskip(SKIP_1) | instid1(VALU_DEP_3)
	v_dual_mul_f32 v33, v65, v4 :: v_dual_fmac_f32 v28, v72, v2
	v_dual_mul_f32 v35, v67, v8 :: v_dual_fmac_f32 v30, v74, v6
	;; [unrolled: 1-line block ×6, first 2 shown]
	v_fma_f32 v2, v72, v3, -v29
	v_fma_f32 v3, v74, v7, -v31
	v_lshlrev_b64 v[0:1], 3, v[0:1]
	v_fma_f32 v4, v64, v5, -v33
	v_fma_f32 v7, v66, v9, -v35
	;; [unrolled: 1-line block ×4, first 2 shown]
	v_dual_fmac_f32 v40, v68, v12 :: v_dual_sub_f32 v15, v2, v3
	v_fma_f32 v6, v68, v13, -v41
	s_waitcnt lgkmcnt(1)
	v_dual_fmac_f32 v42, v70, v16 :: v_dual_add_f32 v11, v19, v2
	v_fma_f32 v13, v70, v17, -v43
	v_dual_add_f32 v10, v28, v30 :: v_dual_add_f32 v29, v21, v4
	v_dual_add_f32 v12, v2, v3 :: v_dual_add_f32 v35, v36, v38
	v_lshlrev_b64 v[26:27], 3, v[26:27]
	v_add_co_u32 v0, vcc_lo, s0, v0
	v_dual_add_f32 v8, v18, v28 :: v_dual_add_f32 v17, v32, v34
	v_dual_add_f32 v14, v20, v32 :: v_dual_sub_f32 v37, v5, v9
	s_waitcnt lgkmcnt(0)
	v_dual_add_f32 v31, v4, v7 :: v_dual_add_f32 v46, v25, v6
	v_dual_sub_f32 v32, v32, v34 :: v_dual_add_f32 v41, v5, v9
	v_add_co_ci_u32_e32 v1, vcc_lo, s1, v1, vcc_lo
	v_dual_sub_f32 v16, v28, v30 :: v_dual_add_f32 v33, v22, v36
	v_dual_sub_f32 v28, v4, v7 :: v_dual_add_f32 v39, v23, v5
	v_dual_add_f32 v44, v40, v42 :: v_dual_add_f32 v47, v6, v13
	v_fma_f32 v4, -0.5, v10, v18
	v_fma_f32 v5, -0.5, v12, v19
	v_add_co_u32 v0, vcc_lo, v0, v26
	v_dual_sub_f32 v36, v36, v38 :: v_dual_sub_f32 v45, v6, v13
	v_dual_add_f32 v43, v24, v40 :: v_dual_add_f32 v6, v14, v34
	v_dual_sub_f32 v40, v40, v42 :: v_dual_add_f32 v3, v11, v3
	v_fma_f32 v20, -0.5, v17, v20
	v_fmac_f32_e32 v21, -0.5, v31
	v_fma_f32 v10, -0.5, v35, v22
	v_fma_f32 v11, -0.5, v41, v23
	v_add_co_ci_u32_e32 v1, vcc_lo, v1, v27, vcc_lo
	v_add_f32_e32 v9, v39, v9
	v_fma_f32 v24, -0.5, v44, v24
	v_dual_fmac_f32 v25, -0.5, v47 :: v_dual_fmamk_f32 v14, v15, 0xbf5db3d7, v4
	v_dual_fmac_f32 v4, 0x3f5db3d7, v15 :: v_dual_fmamk_f32 v15, v16, 0x3f5db3d7, v5
	v_dual_fmac_f32 v5, 0xbf5db3d7, v16 :: v_dual_fmamk_f32 v16, v28, 0xbf5db3d7, v20
	v_dual_add_f32 v2, v8, v30 :: v_dual_add_f32 v7, v29, v7
	s_add_i32 s0, s6, s3
	v_add_co_u32 v50, vcc_lo, v0, s2
	v_dual_add_f32 v8, v33, v38 :: v_dual_fmamk_f32 v17, v32, 0x3f5db3d7, v21
	v_dual_fmac_f32 v21, 0xbf5db3d7, v32 :: v_dual_fmamk_f32 v18, v37, 0xbf5db3d7, v10
	v_dual_fmamk_f32 v19, v36, 0x3f5db3d7, v11 :: v_dual_fmac_f32 v20, 0x3f5db3d7, v28
	v_fmac_f32_e32 v10, 0x3f5db3d7, v37
	v_dual_fmac_f32 v11, 0xbf5db3d7, v36 :: v_dual_fmamk_f32 v22, v45, 0xbf5db3d7, v24
	v_add_co_ci_u32_e32 v51, vcc_lo, s0, v1, vcc_lo
	v_dual_add_f32 v12, v43, v42 :: v_dual_add_f32 v13, v46, v13
	v_dual_fmac_f32 v24, 0x3f5db3d7, v45 :: v_dual_fmamk_f32 v23, v40, 0x3f5db3d7, v25
	v_fmac_f32_e32 v25, 0xbf5db3d7, v40
	ds_store_b64 v112, v[14:15] offset:7776
	ds_store_b64 v112, v[4:5] offset:15552
	ds_store_2addr_b64 v112, v[2:3], v[6:7] offset1:243
	ds_store_2addr_b64 v131, v[16:17], v[18:19] offset0:7 offset1:250
	ds_store_2addr_b64 v130, v[20:21], v[10:11] offset0:11 offset1:254
	;; [unrolled: 1-line block ×3, first 2 shown]
	ds_store_b64 v112, v[22:23] offset:13608
	ds_store_b64 v112, v[24:25] offset:21384
	s_waitcnt lgkmcnt(0)
	s_barrier
	buffer_gl0_inv
	ds_load_2addr_b64 v[2:5], v112 offset1:243
	ds_load_2addr_b64 v[6:9], v117 offset0:6 offset1:249
	ds_load_2addr_b64 v[10:13], v115 offset0:12 offset1:255
	v_add_co_u32 v52, vcc_lo, v50, s2
	ds_load_2addr_b64 v[14:17], v114 offset0:2 offset1:245
	ds_load_2addr_b64 v[18:21], v113 offset0:8 offset1:251
	v_add_co_ci_u32_e32 v53, vcc_lo, s0, v51, vcc_lo
	ds_load_2addr_b64 v[22:25], v116 offset0:6 offset1:249
	v_add_co_u32 v54, vcc_lo, v52, s2
	v_add_co_ci_u32_e32 v55, vcc_lo, s0, v53, vcc_lo
	s_mul_i32 s1, s5, 0xffffbba8
	s_delay_alu instid0(VALU_DEP_2) | instskip(NEXT) | instid1(VALU_DEP_2)
	v_add_co_u32 v56, vcc_lo, v54, s2
	v_add_co_ci_u32_e32 v57, vcc_lo, s0, v55, vcc_lo
	s_sub_i32 s1, s1, s4
	s_delay_alu instid0(VALU_DEP_2)
	v_add_co_u32 v58, vcc_lo, v56, s2
	s_waitcnt lgkmcnt(4)
	v_mul_f32_e32 v28, v85, v7
	v_add_co_ci_u32_e32 v59, vcc_lo, s0, v57, vcc_lo
	v_mul_f32_e32 v26, v83, v3
	s_waitcnt lgkmcnt(1)
	v_dual_mul_f32 v27, v83, v2 :: v_dual_mul_f32 v34, v89, v19
	v_dual_mul_f32 v29, v85, v6 :: v_dual_mul_f32 v30, v91, v11
	s_waitcnt lgkmcnt(0)
	v_dual_mul_f32 v31, v91, v10 :: v_dual_mul_f32 v36, v97, v23
	v_dual_mul_f32 v32, v87, v15 :: v_dual_mul_f32 v35, v89, v18
	;; [unrolled: 1-line block ×3, first 2 shown]
	v_mad_u64_u32 v[60:61], null, 0xffffbba8, s4, v[58:59]
	v_dual_mul_f32 v37, v97, v22 :: v_dual_mul_f32 v40, v95, v9
	v_dual_mul_f32 v39, v81, v4 :: v_dual_mul_f32 v44, v99, v17
	v_dual_mul_f32 v49, v104, v24 :: v_dual_fmac_f32 v26, v82, v2
	v_fma_f32 v27, v82, v3, -v27
	v_dual_mul_f32 v41, v95, v8 :: v_dual_mul_f32 v42, v93, v13
	v_dual_mul_f32 v47, v102, v20 :: v_dual_fmac_f32 v28, v84, v6
	v_fma_f32 v29, v84, v7, -v29
	v_dual_mul_f32 v43, v93, v12 :: v_dual_mul_f32 v46, v102, v21
	v_dual_fmac_f32 v30, v90, v10 :: v_dual_add_nc_u32 v61, s1, v61
	v_fma_f32 v31, v90, v11, -v31
	v_dual_mul_f32 v45, v99, v16 :: v_dual_mul_f32 v48, v104, v25
	v_fmac_f32_e32 v32, v86, v14
	v_fma_f32 v33, v86, v15, -v33
	v_fmac_f32_e32 v34, v88, v18
	v_fma_f32 v35, v88, v19, -v35
	;; [unrolled: 2-line block ×4, first 2 shown]
	v_cvt_f64_f32_e32 v[2:3], v26
	v_cvt_f64_f32_e32 v[4:5], v27
	v_fmac_f32_e32 v40, v94, v8
	v_fma_f32 v41, v94, v9, -v41
	v_cvt_f64_f32_e32 v[6:7], v28
	v_cvt_f64_f32_e32 v[8:9], v29
	v_fmac_f32_e32 v42, v92, v12
	v_fma_f32 v43, v92, v13, -v43
	;; [unrolled: 4-line block ×5, first 2 shown]
	v_cvt_f64_f32_e32 v[22:23], v36
	v_cvt_f64_f32_e32 v[24:25], v37
	;; [unrolled: 1-line block ×14, first 2 shown]
	s_mov_b32 s6, 0xe0bf08c7
	s_mov_b32 s7, 0x3f367980
	s_delay_alu instid0(SALU_CYCLE_1)
	v_mul_f64 v[2:3], v[2:3], s[6:7]
	v_mul_f64 v[4:5], v[4:5], s[6:7]
	;; [unrolled: 1-line block ×24, first 2 shown]
	v_cvt_f32_f64_e32 v2, v[2:3]
	v_cvt_f32_f64_e32 v3, v[4:5]
	;; [unrolled: 1-line block ×24, first 2 shown]
	v_add_co_u32 v26, vcc_lo, v60, s2
	v_add_co_ci_u32_e32 v27, vcc_lo, s0, v61, vcc_lo
	s_delay_alu instid0(VALU_DEP_2) | instskip(NEXT) | instid1(VALU_DEP_2)
	v_add_co_u32 v28, vcc_lo, v26, s2
	v_add_co_ci_u32_e32 v29, vcc_lo, s0, v27, vcc_lo
	s_delay_alu instid0(VALU_DEP_2) | instskip(NEXT) | instid1(VALU_DEP_2)
	;; [unrolled: 3-line block ×4, first 2 shown]
	v_add_co_u32 v34, vcc_lo, v32, s2
	v_add_co_ci_u32_e32 v35, vcc_lo, s0, v33, vcc_lo
	s_clause 0x4
	global_store_b64 v[0:1], v[2:3], off
	global_store_b64 v[50:51], v[4:5], off
	;; [unrolled: 1-line block ×12, first 2 shown]
.LBB0_2:
	s_nop 0
	s_sendmsg sendmsg(MSG_DEALLOC_VGPRS)
	s_endpgm
	.section	.rodata,"a",@progbits
	.p2align	6, 0x0
	.amdhsa_kernel bluestein_single_back_len2916_dim1_sp_op_CI_CI
		.amdhsa_group_segment_fixed_size 23328
		.amdhsa_private_segment_fixed_size 0
		.amdhsa_kernarg_size 104
		.amdhsa_user_sgpr_count 15
		.amdhsa_user_sgpr_dispatch_ptr 0
		.amdhsa_user_sgpr_queue_ptr 0
		.amdhsa_user_sgpr_kernarg_segment_ptr 1
		.amdhsa_user_sgpr_dispatch_id 0
		.amdhsa_user_sgpr_private_segment_size 0
		.amdhsa_wavefront_size32 1
		.amdhsa_uses_dynamic_stack 0
		.amdhsa_enable_private_segment 0
		.amdhsa_system_sgpr_workgroup_id_x 1
		.amdhsa_system_sgpr_workgroup_id_y 0
		.amdhsa_system_sgpr_workgroup_id_z 0
		.amdhsa_system_sgpr_workgroup_info 0
		.amdhsa_system_vgpr_workitem_id 0
		.amdhsa_next_free_vgpr 170
		.amdhsa_next_free_sgpr 20
		.amdhsa_reserve_vcc 1
		.amdhsa_float_round_mode_32 0
		.amdhsa_float_round_mode_16_64 0
		.amdhsa_float_denorm_mode_32 3
		.amdhsa_float_denorm_mode_16_64 3
		.amdhsa_dx10_clamp 1
		.amdhsa_ieee_mode 1
		.amdhsa_fp16_overflow 0
		.amdhsa_workgroup_processor_mode 1
		.amdhsa_memory_ordered 1
		.amdhsa_forward_progress 0
		.amdhsa_shared_vgpr_count 0
		.amdhsa_exception_fp_ieee_invalid_op 0
		.amdhsa_exception_fp_denorm_src 0
		.amdhsa_exception_fp_ieee_div_zero 0
		.amdhsa_exception_fp_ieee_overflow 0
		.amdhsa_exception_fp_ieee_underflow 0
		.amdhsa_exception_fp_ieee_inexact 0
		.amdhsa_exception_int_div_zero 0
	.end_amdhsa_kernel
	.text
.Lfunc_end0:
	.size	bluestein_single_back_len2916_dim1_sp_op_CI_CI, .Lfunc_end0-bluestein_single_back_len2916_dim1_sp_op_CI_CI
                                        ; -- End function
	.section	.AMDGPU.csdata,"",@progbits
; Kernel info:
; codeLenInByte = 12668
; NumSgprs: 22
; NumVgprs: 170
; ScratchSize: 0
; MemoryBound: 0
; FloatMode: 240
; IeeeMode: 1
; LDSByteSize: 23328 bytes/workgroup (compile time only)
; SGPRBlocks: 2
; VGPRBlocks: 21
; NumSGPRsForWavesPerEU: 22
; NumVGPRsForWavesPerEU: 170
; Occupancy: 8
; WaveLimiterHint : 1
; COMPUTE_PGM_RSRC2:SCRATCH_EN: 0
; COMPUTE_PGM_RSRC2:USER_SGPR: 15
; COMPUTE_PGM_RSRC2:TRAP_HANDLER: 0
; COMPUTE_PGM_RSRC2:TGID_X_EN: 1
; COMPUTE_PGM_RSRC2:TGID_Y_EN: 0
; COMPUTE_PGM_RSRC2:TGID_Z_EN: 0
; COMPUTE_PGM_RSRC2:TIDIG_COMP_CNT: 0
	.text
	.p2alignl 7, 3214868480
	.fill 96, 4, 3214868480
	.type	__hip_cuid_ccc6029c35f69433,@object ; @__hip_cuid_ccc6029c35f69433
	.section	.bss,"aw",@nobits
	.globl	__hip_cuid_ccc6029c35f69433
__hip_cuid_ccc6029c35f69433:
	.byte	0                               ; 0x0
	.size	__hip_cuid_ccc6029c35f69433, 1

	.ident	"AMD clang version 19.0.0git (https://github.com/RadeonOpenCompute/llvm-project roc-6.4.0 25133 c7fe45cf4b819c5991fe208aaa96edf142730f1d)"
	.section	".note.GNU-stack","",@progbits
	.addrsig
	.addrsig_sym __hip_cuid_ccc6029c35f69433
	.amdgpu_metadata
---
amdhsa.kernels:
  - .args:
      - .actual_access:  read_only
        .address_space:  global
        .offset:         0
        .size:           8
        .value_kind:     global_buffer
      - .actual_access:  read_only
        .address_space:  global
        .offset:         8
        .size:           8
        .value_kind:     global_buffer
      - .actual_access:  read_only
        .address_space:  global
        .offset:         16
        .size:           8
        .value_kind:     global_buffer
      - .actual_access:  read_only
        .address_space:  global
        .offset:         24
        .size:           8
        .value_kind:     global_buffer
      - .actual_access:  read_only
        .address_space:  global
        .offset:         32
        .size:           8
        .value_kind:     global_buffer
      - .offset:         40
        .size:           8
        .value_kind:     by_value
      - .address_space:  global
        .offset:         48
        .size:           8
        .value_kind:     global_buffer
      - .address_space:  global
        .offset:         56
        .size:           8
        .value_kind:     global_buffer
      - .address_space:  global
        .offset:         64
        .size:           8
        .value_kind:     global_buffer
      - .address_space:  global
        .offset:         72
        .size:           8
        .value_kind:     global_buffer
      - .offset:         80
        .size:           4
        .value_kind:     by_value
      - .address_space:  global
        .offset:         88
        .size:           8
        .value_kind:     global_buffer
      - .address_space:  global
        .offset:         96
        .size:           8
        .value_kind:     global_buffer
    .group_segment_fixed_size: 23328
    .kernarg_segment_align: 8
    .kernarg_segment_size: 104
    .language:       OpenCL C
    .language_version:
      - 2
      - 0
    .max_flat_workgroup_size: 243
    .name:           bluestein_single_back_len2916_dim1_sp_op_CI_CI
    .private_segment_fixed_size: 0
    .sgpr_count:     22
    .sgpr_spill_count: 0
    .symbol:         bluestein_single_back_len2916_dim1_sp_op_CI_CI.kd
    .uniform_work_group_size: 1
    .uses_dynamic_stack: false
    .vgpr_count:     170
    .vgpr_spill_count: 0
    .wavefront_size: 32
    .workgroup_processor_mode: 1
amdhsa.target:   amdgcn-amd-amdhsa--gfx1100
amdhsa.version:
  - 1
  - 2
...

	.end_amdgpu_metadata
